;; amdgpu-corpus repo=ROCm/rocFFT kind=compiled arch=gfx906 opt=O3
	.text
	.amdgcn_target "amdgcn-amd-amdhsa--gfx906"
	.amdhsa_code_object_version 6
	.protected	fft_rtc_back_len289_factors_17_17_wgs_119_tpt_17_sp_op_CI_CI_sbrc_erc_z_xy_unaligned ; -- Begin function fft_rtc_back_len289_factors_17_17_wgs_119_tpt_17_sp_op_CI_CI_sbrc_erc_z_xy_unaligned
	.globl	fft_rtc_back_len289_factors_17_17_wgs_119_tpt_17_sp_op_CI_CI_sbrc_erc_z_xy_unaligned
	.p2align	8
	.type	fft_rtc_back_len289_factors_17_17_wgs_119_tpt_17_sp_op_CI_CI_sbrc_erc_z_xy_unaligned,@function
fft_rtc_back_len289_factors_17_17_wgs_119_tpt_17_sp_op_CI_CI_sbrc_erc_z_xy_unaligned: ; @fft_rtc_back_len289_factors_17_17_wgs_119_tpt_17_sp_op_CI_CI_sbrc_erc_z_xy_unaligned
; %bb.0:
	s_load_dwordx8 s[8:15], s[4:5], 0x0
	s_waitcnt lgkmcnt(0)
	s_load_dwordx4 s[0:3], s[12:13], 0x8
	s_load_dwordx2 s[24:25], s[4:5], 0x20
	s_load_dwordx4 s[16:19], s[14:15], 0x0
	s_load_dword s7, s[14:15], 0x10
	s_waitcnt lgkmcnt(0)
	s_add_i32 s1, s0, -1
	s_mul_hi_u32 s3, s1, 0x24924925
	s_sub_i32 s1, s1, s3
	s_lshr_b32 s1, s1, 1
	s_add_i32 s1, s1, s3
	s_lshr_b32 s1, s1, 2
	s_add_i32 s3, s1, 1
	s_mul_i32 s2, s3, s2
	v_cvt_f32_u32_e32 v2, s2
	v_cvt_f32_u32_e32 v1, s3
	s_sub_i32 s12, 0, s2
	v_rcp_iflag_f32_e32 v2, v2
	v_rcp_iflag_f32_e32 v1, v1
	v_mul_f32_e32 v2, 0x4f7ffffe, v2
	v_cvt_u32_f32_e32 v2, v2
	v_mul_f32_e32 v1, 0x4f7ffffe, v1
	v_cvt_u32_f32_e32 v1, v1
	v_readfirstlane_b32 s19, v2
	s_mul_i32 s12, s12, s19
	s_mul_hi_u32 s12, s19, s12
	s_add_i32 s19, s19, s12
	s_mul_hi_u32 s12, s6, s19
	s_mul_i32 s19, s12, s2
	s_sub_i32 s19, s6, s19
	s_add_i32 s20, s12, 1
	s_sub_i32 s21, s19, s2
	s_cmp_ge_u32 s19, s2
	s_cselect_b32 s12, s20, s12
	s_cselect_b32 s19, s21, s19
	s_add_i32 s20, s12, 1
	s_cmp_ge_u32 s19, s2
	v_readfirstlane_b32 s13, v1
	s_cselect_b32 s19, s20, s12
	s_not_b32 s1, s1
	s_mul_i32 s1, s1, s13
	s_mul_i32 s2, s19, s2
	s_mul_hi_u32 s1, s13, s1
	s_sub_i32 s2, s6, s2
	s_add_i32 s13, s13, s1
	s_mul_hi_u32 s1, s2, s13
	s_mul_i32 s12, s1, s3
	s_sub_i32 s2, s2, s12
	s_add_i32 s20, s1, 1
	s_sub_i32 s12, s2, s3
	s_cmp_ge_u32 s2, s3
	s_cselect_b32 s1, s20, s1
	s_cselect_b32 s2, s12, s2
	s_add_i32 s12, s1, 1
	s_cmp_ge_u32 s2, s3
	s_cselect_b32 s26, s12, s1
	s_mul_hi_u32 s1, s6, s13
	s_mul_i32 s1, s1, s3
	s_sub_i32 s1, s6, s1
	s_sub_i32 s2, s1, s3
	s_cmp_ge_u32 s1, s3
	s_cselect_b32 s1, s2, s1
	s_sub_i32 s2, s1, s3
	s_cmp_ge_u32 s1, s3
	s_cselect_b32 s1, s2, s1
	s_mul_i32 s1, s1, 7
	s_mul_i32 s2, s26, s7
	s_mul_i32 s3, s1, s18
	s_add_i32 s27, s3, s2
	s_lshl_b64 s[6:7], s[10:11], 3
	s_add_u32 s10, s14, s6
	s_addc_u32 s11, s15, s7
	s_load_dwordx2 s[22:23], s[10:11], 0x0
	s_load_dwordx2 s[20:21], s[4:5], 0x58
	s_load_dwordx4 s[12:15], s[24:25], 0x0
	s_load_dwordx2 s[2:3], s[24:25], 0x10
	s_waitcnt lgkmcnt(0)
	s_mul_i32 s3, s23, s19
	s_mul_hi_u32 s10, s22, s19
	s_add_i32 s10, s10, s3
	s_mul_i32 s3, s22, s19
	s_add_u32 s22, s3, s27
	s_addc_u32 s23, s10, 0
	s_add_u32 s6, s24, s6
	s_addc_u32 s7, s25, s7
	s_load_dwordx2 s[10:11], s[6:7], 0x0
	s_add_i32 s3, s1, 7
	s_cmp_le_u32 s3, s0
	s_cselect_b64 s[6:7], -1, 0
	s_mov_b64 s[24:25], -1
	s_and_b64 vcc, exec, s[6:7]
	s_cbranch_vccz .LBB0_2
; %bb.1:
	v_and_b32_e32 v3, 0xffff, v0
	v_mad_u64_u32 v[1:2], s[24:25], s16, v3, 0
	s_lshl_b64 s[24:25], s[22:23], 3
	s_add_u32 s3, s20, s24
	v_mad_u64_u32 v[4:5], s[28:29], s17, v3, v[2:3]
	s_addc_u32 s15, s21, s25
	v_mov_b32_e32 v5, s15
	v_mov_b32_e32 v2, v4
	v_add_u16_e32 v4, 0x77, v0
	v_mad_u64_u32 v[7:8], s[24:25], s16, v4, 0
	v_lshlrev_b64 v[1:2], 3, v[1:2]
	v_mov_b32_e32 v14, s15
	v_add_co_u32_e32 v9, vcc, s3, v1
	v_mov_b32_e32 v1, v8
	v_addc_co_u32_e32 v10, vcc, v5, v2, vcc
	v_mad_u64_u32 v[1:2], s[24:25], s17, v4, v[1:2]
	v_add_u16_e32 v2, 0xee, v0
	v_mul_u32_u24_e32 v5, 0xe3, v2
	v_lshrrev_b32_e32 v5, 16, v5
	v_mul_lo_u16_e32 v6, 0x121, v5
	v_sub_u16_e32 v6, v2, v6
	v_mad_u64_u32 v[11:12], s[24:25], s16, v6, 0
	v_mov_b32_e32 v8, v1
	v_lshlrev_b64 v[1:2], 3, v[7:8]
	v_mov_b32_e32 v7, v12
	v_mad_u64_u32 v[7:8], s[24:25], s17, v6, v[7:8]
	v_add_u16_e32 v8, 0x165, v0
	v_add_co_u32_e32 v13, vcc, s3, v1
	v_mov_b32_e32 v12, v7
	v_mul_u32_u24_e32 v7, 0xe3, v8
	v_lshrrev_b32_e32 v7, 16, v7
	v_mul_lo_u16_e32 v15, 0x121, v7
	v_sub_u16_e32 v8, v8, v15
	v_mul_lo_u32 v1, s18, v5
	v_mad_u64_u32 v[15:16], s[24:25], s16, v8, 0
	v_lshlrev_b64 v[11:12], 3, v[11:12]
	v_addc_co_u32_e32 v14, vcc, v14, v2, vcc
	v_mov_b32_e32 v2, 0
	v_mov_b32_e32 v17, s15
	v_add_co_u32_e32 v18, vcc, s3, v11
	v_addc_co_u32_e32 v19, vcc, v17, v12, vcc
	v_lshlrev_b64 v[11:12], 3, v[1:2]
	v_mov_b32_e32 v1, v16
	v_mad_u64_u32 v[16:17], s[24:25], s17, v8, v[1:2]
	v_mul_lo_u32 v1, s18, v7
	v_add_co_u32_e32 v11, vcc, v18, v11
	v_lshlrev_b64 v[15:16], 3, v[15:16]
	v_addc_co_u32_e32 v12, vcc, v19, v12, vcc
	v_mov_b32_e32 v17, s15
	v_add_co_u32_e32 v19, vcc, s3, v15
	v_addc_co_u32_e32 v20, vcc, v17, v16, vcc
	v_lshlrev_b64 v[15:16], 3, v[1:2]
	v_add_u16_e32 v1, 0x1dc, v0
	v_mul_u32_u24_e32 v17, 0xe3, v1
	v_lshrrev_b32_e32 v47, 16, v17
	v_mul_lo_u16_e32 v17, 0x121, v47
	v_sub_u16_e32 v48, v1, v17
	v_mad_u64_u32 v[17:18], s[24:25], s16, v48, 0
	v_add_co_u32_e32 v15, vcc, v19, v15
	v_mov_b32_e32 v1, v18
	v_mad_u64_u32 v[18:19], s[24:25], s17, v48, v[1:2]
	v_addc_co_u32_e32 v16, vcc, v20, v16, vcc
	global_load_dwordx2 v[19:20], v[9:10], off
	global_load_dwordx2 v[21:22], v[13:14], off
	;; [unrolled: 1-line block ×4, first 2 shown]
	v_add_u16_e32 v11, 0x253, v0
	v_mul_u32_u24_e32 v12, 0xe3, v11
	v_lshrrev_b32_e32 v49, 16, v12
	v_mul_lo_u16_e32 v12, 0x121, v49
	v_sub_u16_e32 v50, v11, v12
	v_mul_lo_u32 v1, s18, v47
	v_mad_u64_u32 v[11:12], s[24:25], s16, v50, 0
	v_lshlrev_b64 v[9:10], 3, v[17:18]
	v_mov_b32_e32 v13, s15
	v_add_co_u32_e32 v14, vcc, s3, v9
	v_addc_co_u32_e32 v15, vcc, v13, v10, vcc
	v_lshlrev_b64 v[9:10], 3, v[1:2]
	v_mov_b32_e32 v1, v12
	v_mad_u64_u32 v[12:13], s[24:25], s17, v50, v[1:2]
	v_add_u16_e32 v13, 0x2ca, v0
	v_add_co_u32_e32 v9, vcc, v14, v9
	v_mul_u32_u24_e32 v14, 0xe3, v13
	v_lshrrev_b32_e32 v51, 16, v14
	v_mul_lo_u16_e32 v14, 0x121, v51
	v_sub_u16_e32 v52, v13, v14
	v_mul_lo_u32 v1, s18, v49
	v_mad_u64_u32 v[13:14], s[24:25], s16, v52, 0
	v_lshlrev_b64 v[11:12], 3, v[11:12]
	v_addc_co_u32_e32 v10, vcc, v15, v10, vcc
	v_mov_b32_e32 v15, s15
	v_add_co_u32_e32 v16, vcc, s3, v11
	v_addc_co_u32_e32 v17, vcc, v15, v12, vcc
	v_lshlrev_b64 v[11:12], 3, v[1:2]
	v_mov_b32_e32 v1, v14
	v_mad_u64_u32 v[14:15], s[24:25], s17, v52, v[1:2]
	v_add_u16_e32 v15, 0x341, v0
	v_add_co_u32_e32 v11, vcc, v16, v11
	v_mul_u32_u24_e32 v16, 0xe3, v15
	v_lshrrev_b32_e32 v53, 16, v16
	v_mul_lo_u16_e32 v16, 0x121, v53
	v_sub_u16_e32 v54, v15, v16
	v_mul_lo_u32 v1, s18, v51
	v_mad_u64_u32 v[15:16], s[24:25], s16, v54, 0
	v_lshlrev_b64 v[13:14], 3, v[13:14]
	v_addc_co_u32_e32 v12, vcc, v17, v12, vcc
	;; [unrolled: 16-line block ×3, first 2 shown]
	v_mov_b32_e32 v27, s15
	v_add_co_u32_e32 v29, vcc, s3, v15
	v_addc_co_u32_e32 v30, vcc, v27, v16, vcc
	v_lshlrev_b64 v[15:16], 3, v[1:2]
	v_mov_b32_e32 v1, v18
	v_mad_u64_u32 v[27:28], s[24:25], s17, v56, v[1:2]
	v_mul_lo_u32 v1, s18, v55
	v_add_co_u32_e32 v15, vcc, v29, v15
	v_mov_b32_e32 v18, v27
	v_add_u16_e32 v27, 0x42f, v0
	v_mul_u32_u24_e32 v28, 0x717, v27
	v_lshrrev_b32_e32 v57, 19, v28
	v_mul_lo_u16_e32 v28, 0x121, v57
	v_sub_u16_e32 v58, v27, v28
	v_mad_u64_u32 v[27:28], s[24:25], s16, v58, 0
	v_lshlrev_b64 v[17:18], 3, v[17:18]
	v_addc_co_u32_e32 v16, vcc, v30, v16, vcc
	v_mov_b32_e32 v29, s15
	v_add_co_u32_e32 v30, vcc, s3, v17
	v_addc_co_u32_e32 v31, vcc, v29, v18, vcc
	v_lshlrev_b64 v[17:18], 3, v[1:2]
	v_mov_b32_e32 v1, v28
	v_mad_u64_u32 v[28:29], s[24:25], s17, v58, v[1:2]
	v_mul_lo_u32 v1, s18, v57
	v_add_co_u32_e32 v17, vcc, v30, v17
	v_lshlrev_b64 v[27:28], 3, v[27:28]
	v_addc_co_u32_e32 v18, vcc, v31, v18, vcc
	v_mov_b32_e32 v29, s15
	v_add_co_u32_e32 v31, vcc, s3, v27
	v_addc_co_u32_e32 v32, vcc, v29, v28, vcc
	v_lshlrev_b64 v[27:28], 3, v[1:2]
	v_add_u16_e32 v1, 0x4a6, v0
	v_mul_u32_u24_e32 v29, 0x717, v1
	v_lshrrev_b32_e32 v59, 19, v29
	v_mul_lo_u16_e32 v29, 0x121, v59
	v_sub_u16_e32 v60, v1, v29
	v_mad_u64_u32 v[29:30], s[24:25], s16, v60, 0
	v_add_co_u32_e32 v27, vcc, v31, v27
	v_mov_b32_e32 v1, v30
	v_mad_u64_u32 v[30:31], s[24:25], s17, v60, v[1:2]
	v_addc_co_u32_e32 v28, vcc, v32, v28, vcc
	global_load_dwordx2 v[31:32], v[9:10], off
	global_load_dwordx2 v[33:34], v[11:12], off
	;; [unrolled: 1-line block ×4, first 2 shown]
	v_add_u16_e32 v11, 0x51d, v0
	v_mul_u32_u24_e32 v12, 0x717, v11
	v_lshrrev_b32_e32 v61, 19, v12
	v_mul_lo_u16_e32 v12, 0x121, v61
	v_sub_u16_e32 v62, v11, v12
	v_mul_lo_u32 v1, s18, v59
	v_mad_u64_u32 v[11:12], s[24:25], s16, v62, 0
	v_lshlrev_b64 v[9:10], 3, v[29:30]
	v_mov_b32_e32 v13, s15
	v_add_co_u32_e32 v14, vcc, s3, v9
	v_addc_co_u32_e32 v15, vcc, v13, v10, vcc
	v_lshlrev_b64 v[9:10], 3, v[1:2]
	v_mov_b32_e32 v1, v12
	v_mad_u64_u32 v[12:13], s[24:25], s17, v62, v[1:2]
	v_mul_lo_u32 v1, s18, v61
	v_add_co_u32_e32 v9, vcc, v14, v9
	v_lshlrev_b64 v[11:12], 3, v[11:12]
	v_addc_co_u32_e32 v10, vcc, v15, v10, vcc
	v_mov_b32_e32 v13, s15
	v_add_co_u32_e32 v15, vcc, s3, v11
	v_addc_co_u32_e32 v16, vcc, v13, v12, vcc
	v_lshlrev_b64 v[11:12], 3, v[1:2]
	v_add_u16_e32 v1, 0x594, v0
	v_mul_u32_u24_e32 v13, 0x717, v1
	v_lshrrev_b32_e32 v63, 19, v13
	v_mul_lo_u16_e32 v13, 0x121, v63
	v_sub_u16_e32 v64, v1, v13
	v_mad_u64_u32 v[13:14], s[24:25], s16, v64, 0
	v_add_co_u32_e32 v11, vcc, v15, v11
	v_mov_b32_e32 v1, v14
	v_mad_u64_u32 v[14:15], s[24:25], s17, v64, v[1:2]
	v_addc_co_u32_e32 v12, vcc, v16, v12, vcc
	global_load_dwordx2 v[15:16], v[17:18], off
	global_load_dwordx2 v[29:30], v[27:28], off
	;; [unrolled: 1-line block ×4, first 2 shown]
	v_add_u16_e32 v11, 0x60b, v0
	v_mul_u32_u24_e32 v12, 0x717, v11
	v_lshrrev_b32_e32 v65, 19, v12
	v_mul_lo_u16_e32 v12, 0x121, v65
	v_sub_u16_e32 v66, v11, v12
	v_mul_lo_u32 v1, s18, v63
	v_mad_u64_u32 v[11:12], s[24:25], s16, v66, 0
	v_lshlrev_b64 v[9:10], 3, v[13:14]
	v_mov_b32_e32 v13, s15
	v_add_co_u32_e32 v14, vcc, s3, v9
	v_addc_co_u32_e32 v17, vcc, v13, v10, vcc
	v_lshlrev_b64 v[9:10], 3, v[1:2]
	v_mov_b32_e32 v1, v12
	v_mad_u64_u32 v[12:13], s[24:25], s17, v66, v[1:2]
	v_add_u16_e32 v13, 0x682, v0
	v_add_co_u32_e32 v9, vcc, v14, v9
	v_mul_u32_u24_e32 v14, 0x717, v13
	v_lshrrev_b32_e32 v67, 19, v14
	v_mul_lo_u16_e32 v14, 0x121, v67
	v_sub_u16_e32 v68, v13, v14
	v_mul_lo_u32 v1, s18, v65
	v_mad_u64_u32 v[13:14], s[24:25], s16, v68, 0
	v_lshlrev_b64 v[11:12], 3, v[11:12]
	v_addc_co_u32_e32 v10, vcc, v17, v10, vcc
	v_mov_b32_e32 v17, s15
	v_add_co_u32_e32 v27, vcc, s3, v11
	v_addc_co_u32_e32 v28, vcc, v17, v12, vcc
	v_lshlrev_b64 v[11:12], 3, v[1:2]
	v_mov_b32_e32 v1, v14
	v_mad_u64_u32 v[17:18], s[24:25], s17, v68, v[1:2]
	v_mul_lo_u32 v1, s18, v67
	v_add_co_u32_e32 v11, vcc, v27, v11
	v_mov_b32_e32 v14, v17
	v_add_u16_e32 v17, 0x6f9, v0
	v_mul_u32_u24_e32 v18, 0x717, v17
	v_lshrrev_b32_e32 v69, 19, v18
	v_mul_lo_u16_e32 v18, 0x121, v69
	v_sub_u16_e32 v70, v17, v18
	v_mad_u64_u32 v[17:18], s[24:25], s16, v70, 0
	v_lshlrev_b64 v[13:14], 3, v[13:14]
	v_addc_co_u32_e32 v12, vcc, v28, v12, vcc
	v_mov_b32_e32 v27, s15
	v_add_co_u32_e32 v43, vcc, s3, v13
	v_addc_co_u32_e32 v44, vcc, v27, v14, vcc
	v_lshlrev_b64 v[13:14], 3, v[1:2]
	v_mov_b32_e32 v1, v18
	v_mad_u64_u32 v[27:28], s[24:25], s17, v70, v[1:2]
	v_mul_lo_u32 v1, s18, v69
	v_add_co_u32_e32 v13, vcc, v43, v13
	v_mov_b32_e32 v18, v27
	v_add_u16_e32 v27, 0x770, v0
	v_mul_u32_u24_e32 v28, 0x717, v27
	v_lshrrev_b32_e32 v71, 19, v28
	v_mul_lo_u16_e32 v28, 0x121, v71
	v_sub_u16_e32 v72, v27, v28
	v_mad_u64_u32 v[27:28], s[24:25], s16, v72, 0
	v_lshlrev_b64 v[17:18], 3, v[17:18]
	v_addc_co_u32_e32 v14, vcc, v44, v14, vcc
	v_mov_b32_e32 v43, s15
	v_add_co_u32_e32 v45, vcc, s3, v17
	v_addc_co_u32_e32 v46, vcc, v43, v18, vcc
	v_lshlrev_b64 v[17:18], 3, v[1:2]
	v_mov_b32_e32 v1, v28
	v_mad_u64_u32 v[43:44], s[24:25], s17, v72, v[1:2]
	global_load_dwordx2 v[9:10], v[9:10], off
	v_mul_lo_u32 v1, s18, v71
	v_mov_b32_e32 v28, v43
	v_add_co_u32_e32 v17, vcc, v45, v17
	v_lshlrev_b64 v[27:28], 3, v[27:28]
	v_addc_co_u32_e32 v18, vcc, v46, v18, vcc
	global_load_dwordx2 v[43:44], v[11:12], off
	global_load_dwordx2 v[45:46], v[13:14], off
	v_mov_b32_e32 v73, s15
	v_add_co_u32_e32 v13, vcc, s3, v27
	v_lshlrev_b64 v[1:2], 3, v[1:2]
	v_addc_co_u32_e32 v14, vcc, v73, v28, vcc
	global_load_dwordx2 v[11:12], v[17:18], off
	v_add_co_u32_e32 v1, vcc, v13, v1
	v_addc_co_u32_e32 v2, vcc, v14, v2, vcc
	global_load_dwordx2 v[1:2], v[1:2], off
	v_lshl_add_u32 v3, v3, 3, 0
	v_mul_u32_u24_e32 v5, 0x910, v5
	v_mul_u32_u24_e32 v7, 0x910, v7
	v_lshlrev_b32_e32 v6, 3, v6
	v_lshlrev_b32_e32 v8, 3, v8
	v_lshl_add_u32 v4, v4, 3, 0
	v_add3_u32 v5, 0, v5, v6
	s_waitcnt vmcnt(16)
	ds_write_b64 v3, v[19:20]
	s_waitcnt vmcnt(15)
	ds_write_b64 v4, v[21:22]
	;; [unrolled: 2-line block ×3, first 2 shown]
	v_add3_u32 v3, 0, v7, v8
	s_waitcnt vmcnt(13)
	ds_write_b64 v3, v[25:26]
	v_mul_u32_u24_e32 v3, 0x910, v47
	v_lshlrev_b32_e32 v4, 3, v48
	v_add3_u32 v3, 0, v3, v4
	s_waitcnt vmcnt(12)
	ds_write_b64 v3, v[31:32]
	v_mul_u32_u24_e32 v3, 0x910, v49
	v_lshlrev_b32_e32 v4, 3, v50
	;; [unrolled: 5-line block ×9, first 2 shown]
	v_add3_u32 v3, 0, v3, v4
	v_lshlrev_b32_e32 v4, 3, v66
	s_mov_b64 s[24:25], 0
	s_waitcnt vmcnt(4)
	ds_write_b64 v3, v[9:10]
	v_mul_u32_u24_e32 v3, 0x910, v65
	v_add3_u32 v3, 0, v3, v4
	v_lshlrev_b32_e32 v4, 3, v68
	s_waitcnt vmcnt(3)
	ds_write_b64 v3, v[43:44]
	v_mul_u32_u24_e32 v3, 0x910, v67
	v_add3_u32 v3, 0, v3, v4
	s_waitcnt vmcnt(2)
	ds_write_b64 v3, v[45:46]
	v_mul_u32_u24_e32 v3, 0x910, v69
	v_lshlrev_b32_e32 v4, 3, v70
	v_add3_u32 v3, 0, v3, v4
	v_lshlrev_b32_e32 v4, 3, v72
	s_waitcnt vmcnt(1)
	ds_write_b64 v3, v[11:12]
	v_mul_u32_u24_e32 v3, 0x910, v71
	v_add3_u32 v3, 0, v3, v4
	s_waitcnt vmcnt(0)
	ds_write_b64 v3, v[1:2]
.LBB0_2:
	s_load_dwordx2 s[4:5], s[4:5], 0x60
	s_andn2_b64 vcc, exec, s[24:25]
	s_cbranch_vccnz .LBB0_6
; %bb.3:
	s_lshl_b64 s[22:23], s[22:23], 3
	s_add_u32 s3, s20, s22
	s_addc_u32 s22, s21, s23
	s_mov_b64 s[20:21], 0
	s_mov_b32 s15, 0xe2c5
	v_mov_b32_e32 v2, 0
	v_mov_b32_e32 v3, s22
	s_movk_i32 s22, 0x7e6
	v_mov_b32_e32 v4, v0
.LBB0_4:                                ; =>This Inner Loop Header: Depth=1
	v_mul_u32_u24_sdwa v1, v4, s15 dst_sel:DWORD dst_unused:UNUSED_PAD src0_sel:WORD_0 src1_sel:DWORD
	v_lshrrev_b32_e32 v11, 24, v1
	v_mul_lo_u16_e32 v5, 0x121, v11
	v_sub_u16_e32 v12, v4, v5
	v_mul_lo_u32 v1, v11, s18
	v_mad_u64_u32 v[5:6], s[24:25], s16, v12, 0
	v_add_u32_e32 v4, 0x77, v4
	v_lshlrev_b64 v[7:8], 3, v[1:2]
	v_mov_b32_e32 v1, v6
	v_mad_u64_u32 v[9:10], s[24:25], s17, v12, v[1:2]
	v_mov_b32_e32 v6, v9
	v_lshlrev_b64 v[5:6], 3, v[5:6]
	v_add_co_u32_e32 v1, vcc, s3, v5
	v_addc_co_u32_e32 v6, vcc, v3, v6, vcc
	v_add_co_u32_e32 v5, vcc, v1, v7
	v_addc_co_u32_e32 v6, vcc, v6, v8, vcc
	global_load_dwordx2 v[5:6], v[5:6], off
	v_mul_u32_u24_e32 v1, 0x910, v11
	v_lshlrev_b32_e32 v7, 3, v12
	v_cmp_lt_u32_e32 vcc, s22, v4
	v_add3_u32 v1, 0, v1, v7
	s_or_b64 s[20:21], vcc, s[20:21]
	s_waitcnt vmcnt(0)
	ds_write_b64 v1, v[5:6]
	s_andn2_b64 exec, exec, s[20:21]
	s_cbranch_execnz .LBB0_4
; %bb.5:
	s_or_b64 exec, exec, s[20:21]
.LBB0_6:
	s_movk_i32 s3, 0xf10
	v_mul_u32_u24_sdwa v1, v0, s3 dst_sel:DWORD dst_unused:UNUSED_PAD src0_sel:WORD_0 src1_sel:DWORD
	v_add_u32_sdwa v1, s1, v1 dst_sel:DWORD dst_unused:UNUSED_PAD src0_sel:DWORD src1_sel:WORD_1
	s_mov_b32 s3, 0x24924925
	v_mul_hi_u32 v2, v1, s3
	s_mov_b32 s15, 0xf0f0f10
	v_mul_hi_u32 v3, v0, s15
	s_waitcnt lgkmcnt(0)
	v_sub_u32_e32 v4, v1, v2
	v_lshrrev_b32_e32 v4, 1, v4
	v_add_u32_e32 v2, v4, v2
	v_lshrrev_b32_e32 v2, 2, v2
	v_mul_lo_u32 v2, v2, 7
	v_mul_u32_u24_e32 v3, 17, v3
	v_sub_u32_e32 v30, v0, v3
	s_barrier
	v_sub_u32_e32 v1, v1, v2
	v_mul_u32_u24_e32 v1, 0x122, v1
	v_lshlrev_b32_e32 v1, 3, v1
	v_add_u32_e32 v31, 0, v1
	v_lshlrev_b32_e32 v2, 3, v30
	v_add_u32_e32 v29, v31, v2
	ds_read_b64 v[19:20], v29
	v_add3_u32 v33, 0, v2, v1
	v_add_u32_e32 v17, 0x400, v33
	ds_read2_b64 v[21:24], v33 offset0:17 offset1:34
	ds_read2_b64 v[43:46], v33 offset0:51 offset1:68
	;; [unrolled: 1-line block ×8, first 2 shown]
	s_waitcnt lgkmcnt(7)
	v_add_f32_e32 v17, v19, v21
	v_add_f32_e32 v18, v20, v22
	v_add_f32_e32 v17, v17, v23
	v_add_f32_e32 v18, v18, v24
	s_waitcnt lgkmcnt(6)
	v_add_f32_e32 v17, v17, v43
	v_add_f32_e32 v18, v18, v44
	v_add_f32_e32 v17, v17, v45
	v_add_f32_e32 v18, v18, v46
	;; [unrolled: 5-line block ×7, first 2 shown]
	s_waitcnt lgkmcnt(0)
	v_add_f32_e32 v17, v17, v34
	v_sub_f32_e32 v54, v22, v37
	v_add_f32_e32 v18, v18, v35
	v_add_f32_e32 v17, v17, v36
	;; [unrolled: 1-line block ×3, first 2 shown]
	v_sub_f32_e32 v38, v21, v36
	v_add_f32_e32 v28, v52, v44
	v_sub_f32_e32 v36, v44, v52
	v_mul_f32_e32 v52, 0xbe3c28d5, v54
	v_add_f32_e32 v18, v18, v37
	v_add_f32_e32 v42, v37, v22
	v_mul_f32_e32 v40, 0xbeb8f4ab, v54
	s_mov_b32 s17, 0x3f6eb680
	v_mul_f32_e32 v47, 0xbf2c7751, v54
	s_mov_b32 s16, 0x3f3d2fb0
	;; [unrolled: 2-line block ×3, first 2 shown]
	v_add_f32_e32 v21, v34, v23
	v_add_f32_e32 v25, v35, v24
	v_sub_f32_e32 v22, v23, v34
	v_sub_f32_e32 v32, v24, v35
	v_add_f32_e32 v23, v51, v43
	v_sub_f32_e32 v24, v43, v51
	v_add_f32_e32 v35, v50, v46
	;; [unrolled: 2-line block ×4, first 2 shown]
	v_sub_f32_e32 v43, v12, v14
	v_mul_f32_e32 v12, 0xbf7ee86f, v54
	s_mov_b32 s18, 0x3dbcf732
	v_mul_f32_e32 v14, 0xbf763a35, v54
	s_mov_b32 s20, 0xbe8c1d8e
	v_mul_f32_e32 v16, 0xbf4c4adb, v54
	s_mov_b32 s21, 0xbf1a4643
	s_mov_b32 s22, 0xbf59a7d5
	v_mul_f32_e32 v50, 0xbf06c442, v54
	s_mov_b32 s23, 0xbf7ba420
	v_mov_b32_e32 v54, v52
	v_fma_f32 v41, v53, s17, -v40
	v_fmac_f32_e32 v40, 0x3f6eb680, v53
	v_fma_f32 v48, v53, s16, -v47
	v_fmac_f32_e32 v47, 0x3f3d2fb0, v53
	v_add_f32_e32 v26, v49, v45
	v_sub_f32_e32 v27, v45, v49
	v_add_f32_e32 v34, v15, v9
	v_sub_f32_e32 v9, v9, v15
	;; [unrolled: 2-line block ×3, first 2 shown]
	v_fma_f32 v11, v53, s15, -v55
	v_fmac_f32_e32 v55, 0x3ee437d1, v53
	v_fma_f32 v13, v53, s18, -v12
	v_fmac_f32_e32 v12, 0x3dbcf732, v53
	v_fma_f32 v15, v53, s20, -v14
	v_fmac_f32_e32 v14, 0xbe8c1d8e, v53
	v_fma_f32 v49, v53, s21, -v16
	v_fmac_f32_e32 v16, 0xbf1a4643, v53
	v_fma_f32 v51, v53, s22, -v50
	v_fmac_f32_e32 v50, 0xbf59a7d5, v53
	v_fmac_f32_e32 v54, 0xbf7ba420, v53
	v_fma_f32 v52, v53, s23, -v52
	v_mul_f32_e32 v53, 0x3f6eb680, v42
	v_mul_f32_e32 v57, 0x3f3d2fb0, v42
	;; [unrolled: 1-line block ×8, first 2 shown]
	v_mov_b32_e32 v56, v53
	v_mov_b32_e32 v58, v57
	;; [unrolled: 1-line block ×8, first 2 shown]
	v_fmac_f32_e32 v56, 0x3eb8f4ab, v38
	v_fmac_f32_e32 v53, 0xbeb8f4ab, v38
	;; [unrolled: 1-line block ×16, first 2 shown]
	v_add_f32_e32 v38, v19, v40
	v_add_f32_e32 v40, v20, v56
	;; [unrolled: 1-line block ×17, first 2 shown]
	v_mul_f32_e32 v42, 0xbf2c7751, v32
	v_add_f32_e32 v41, v19, v41
	v_add_f32_e32 v47, v19, v47
	;; [unrolled: 1-line block ×15, first 2 shown]
	v_fma_f32 v52, v21, s16, -v42
	v_fmac_f32_e32 v42, 0x3f3d2fb0, v21
	v_add_f32_e32 v38, v42, v38
	v_mul_f32_e32 v42, 0x3f3d2fb0, v25
	v_mov_b32_e32 v69, v42
	v_add_f32_e32 v41, v52, v41
	v_fmac_f32_e32 v42, 0xbf2c7751, v22
	v_mul_f32_e32 v52, 0xbf7ee86f, v32
	v_add_f32_e32 v42, v42, v53
	v_fma_f32 v53, v21, s18, -v52
	v_fmac_f32_e32 v52, 0x3dbcf732, v21
	v_fmac_f32_e32 v69, 0x3f2c7751, v22
	v_add_f32_e32 v47, v52, v47
	v_mul_f32_e32 v52, 0x3dbcf732, v25
	v_add_f32_e32 v40, v69, v40
	v_mov_b32_e32 v69, v52
	v_add_f32_e32 v48, v53, v48
	v_fmac_f32_e32 v52, 0xbf7ee86f, v22
	v_mul_f32_e32 v53, 0xbf4c4adb, v32
	v_add_f32_e32 v52, v52, v57
	v_fma_f32 v57, v21, s21, -v53
	v_fmac_f32_e32 v53, 0xbf1a4643, v21
	v_fmac_f32_e32 v69, 0x3f7ee86f, v22
	v_add_f32_e32 v53, v53, v55
	v_mul_f32_e32 v55, 0xbf1a4643, v25
	v_add_f32_e32 v56, v69, v56
	;; [unrolled: 11-line block ×5, first 2 shown]
	v_mov_b32_e32 v69, v61
	v_add_f32_e32 v49, v63, v49
	v_fmac_f32_e32 v61, 0x3f763a35, v22
	v_mul_f32_e32 v63, 0x3f65296c, v32
	v_add_f32_e32 v61, v61, v65
	v_fma_f32 v65, v21, s15, -v63
	v_mul_f32_e32 v32, 0x3eb8f4ab, v32
	v_fmac_f32_e32 v63, 0x3ee437d1, v21
	v_add_f32_e32 v51, v65, v51
	v_mov_b32_e32 v65, v32
	v_add_f32_e32 v50, v63, v50
	v_mul_f32_e32 v63, 0x3ee437d1, v25
	v_fmac_f32_e32 v65, 0x3f6eb680, v21
	v_mul_f32_e32 v25, 0x3f6eb680, v25
	v_fmac_f32_e32 v69, 0xbf763a35, v22
	v_add_f32_e32 v54, v65, v54
	v_mov_b32_e32 v65, v25
	v_fma_f32 v21, v21, s17, -v32
	v_fmac_f32_e32 v25, 0x3eb8f4ab, v22
	v_add_f32_e32 v64, v69, v64
	v_mov_b32_e32 v69, v63
	v_add_f32_e32 v19, v21, v19
	v_add_f32_e32 v20, v25, v20
	v_mul_f32_e32 v21, 0xbf65296c, v36
	v_mul_f32_e32 v25, 0x3ee437d1, v28
	v_fmac_f32_e32 v69, 0xbf65296c, v22
	v_fmac_f32_e32 v63, 0x3f65296c, v22
	;; [unrolled: 1-line block ×3, first 2 shown]
	v_fma_f32 v22, v23, s15, -v21
	v_fmac_f32_e32 v21, 0x3ee437d1, v23
	v_mov_b32_e32 v32, v25
	v_add_f32_e32 v21, v21, v38
	v_fmac_f32_e32 v32, 0x3f65296c, v24
	v_mul_f32_e32 v38, 0xbf4c4adb, v36
	v_add_f32_e32 v32, v32, v40
	v_add_f32_e32 v22, v22, v41
	v_fmac_f32_e32 v25, 0xbf65296c, v24
	v_fma_f32 v40, v23, s21, -v38
	v_fmac_f32_e32 v38, 0xbf1a4643, v23
	v_mul_f32_e32 v41, 0xbf1a4643, v28
	v_add_f32_e32 v25, v25, v42
	v_add_f32_e32 v38, v38, v47
	v_mov_b32_e32 v42, v41
	v_fmac_f32_e32 v41, 0xbf4c4adb, v24
	v_mul_f32_e32 v47, 0x3e3c28d5, v36
	v_add_f32_e32 v40, v40, v48
	v_add_f32_e32 v41, v41, v52
	v_fma_f32 v48, v23, s23, -v47
	v_fmac_f32_e32 v47, 0xbf7ba420, v23
	v_mul_f32_e32 v52, 0xbf7ba420, v28
	v_add_f32_e32 v47, v47, v53
	v_mov_b32_e32 v53, v52
	v_fmac_f32_e32 v52, 0x3e3c28d5, v24
	v_add_f32_e32 v11, v48, v11
	v_add_f32_e32 v48, v52, v55
	v_mul_f32_e32 v52, 0x3f763a35, v36
	v_fma_f32 v55, v23, s20, -v52
	v_fmac_f32_e32 v52, 0xbe8c1d8e, v23
	v_fmac_f32_e32 v42, 0x3f4c4adb, v24
	v_add_f32_e32 v12, v52, v12
	v_mul_f32_e32 v52, 0xbe8c1d8e, v28
	v_add_f32_e32 v42, v42, v56
	v_mov_b32_e32 v56, v52
	v_add_f32_e32 v13, v55, v13
	v_fmac_f32_e32 v52, 0x3f763a35, v24
	v_mul_f32_e32 v55, 0x3f2c7751, v36
	v_add_f32_e32 v52, v52, v57
	v_fma_f32 v57, v23, s16, -v55
	v_fmac_f32_e32 v55, 0x3f3d2fb0, v23
	v_fmac_f32_e32 v53, 0xbe3c28d5, v24
	v_add_f32_e32 v14, v55, v14
	v_mul_f32_e32 v55, 0x3f3d2fb0, v28
	v_add_f32_e32 v53, v53, v58
	v_mov_b32_e32 v58, v55
	v_add_f32_e32 v15, v57, v15
	v_fmac_f32_e32 v55, 0x3f2c7751, v24
	v_mul_f32_e32 v57, 0xbeb8f4ab, v36
	v_add_f32_e32 v55, v55, v59
	;; [unrolled: 11-line block ×3, first 2 shown]
	v_fma_f32 v61, v23, s18, -v59
	v_mul_f32_e32 v36, 0xbf06c442, v36
	v_fmac_f32_e32 v59, 0x3dbcf732, v23
	v_add_f32_e32 v51, v61, v51
	v_mov_b32_e32 v61, v36
	v_fmac_f32_e32 v58, 0xbf2c7751, v24
	v_add_f32_e32 v50, v59, v50
	v_mul_f32_e32 v59, 0x3dbcf732, v28
	v_fmac_f32_e32 v61, 0xbf59a7d5, v23
	v_mul_f32_e32 v28, 0xbf59a7d5, v28
	v_fma_f32 v23, v23, s22, -v36
	v_add_f32_e32 v58, v58, v62
	v_mov_b32_e32 v62, v59
	v_add_f32_e32 v54, v61, v54
	v_mov_b32_e32 v61, v28
	v_add_f32_e32 v19, v23, v19
	v_mul_f32_e32 v23, 0xbf7ee86f, v39
	v_fmac_f32_e32 v60, 0x3eb8f4ab, v24
	v_fmac_f32_e32 v62, 0x3f7ee86f, v24
	;; [unrolled: 1-line block ×5, first 2 shown]
	v_fma_f32 v24, v26, s18, -v23
	v_fmac_f32_e32 v23, 0x3dbcf732, v26
	v_add_f32_e32 v21, v23, v21
	v_mul_f32_e32 v23, 0x3dbcf732, v35
	v_add_f32_e32 v20, v28, v20
	v_mov_b32_e32 v28, v23
	v_fmac_f32_e32 v28, 0x3f7ee86f, v27
	v_add_f32_e32 v28, v28, v32
	v_add_f32_e32 v22, v24, v22
	v_fmac_f32_e32 v23, 0xbf7ee86f, v27
	v_mul_f32_e32 v24, 0xbe3c28d5, v39
	v_mul_f32_e32 v32, 0xbf7ba420, v35
	v_add_f32_e32 v23, v23, v25
	v_fma_f32 v25, v26, s23, -v24
	v_fmac_f32_e32 v24, 0xbf7ba420, v26
	v_mov_b32_e32 v36, v32
	v_fmac_f32_e32 v32, 0xbe3c28d5, v27
	v_add_f32_e32 v24, v24, v38
	v_fmac_f32_e32 v36, 0x3e3c28d5, v27
	v_add_f32_e32 v32, v32, v41
	v_mul_f32_e32 v38, 0x3f763a35, v39
	v_mul_f32_e32 v41, 0xbe8c1d8e, v35
	v_add_f32_e32 v36, v36, v42
	v_add_f32_e32 v25, v25, v40
	v_fma_f32 v40, v26, s20, -v38
	v_mov_b32_e32 v42, v41
	v_fmac_f32_e32 v41, 0x3f763a35, v27
	v_fmac_f32_e32 v38, 0xbe8c1d8e, v26
	v_add_f32_e32 v11, v40, v11
	v_add_f32_e32 v40, v41, v48
	v_mul_f32_e32 v41, 0x3eb8f4ab, v39
	v_add_f32_e32 v38, v38, v47
	v_fma_f32 v47, v26, s17, -v41
	v_fmac_f32_e32 v41, 0x3f6eb680, v26
	v_add_f32_e32 v12, v41, v12
	v_mul_f32_e32 v41, 0x3f6eb680, v35
	v_mov_b32_e32 v48, v41
	v_add_f32_e32 v13, v47, v13
	v_fmac_f32_e32 v41, 0x3eb8f4ab, v27
	v_mul_f32_e32 v47, 0xbf65296c, v39
	v_add_f32_e32 v41, v41, v52
	v_fma_f32 v52, v26, s15, -v47
	v_fmac_f32_e32 v47, 0x3ee437d1, v26
	v_fmac_f32_e32 v42, 0xbf763a35, v27
	v_add_f32_e32 v14, v47, v14
	v_mul_f32_e32 v47, 0x3ee437d1, v35
	v_add_f32_e32 v42, v42, v53
	v_mov_b32_e32 v53, v47
	v_add_f32_e32 v15, v52, v15
	v_fmac_f32_e32 v47, 0xbf65296c, v27
	v_mul_f32_e32 v52, 0xbf06c442, v39
	v_add_f32_e32 v47, v47, v55
	v_fma_f32 v55, v26, s22, -v52
	v_fmac_f32_e32 v52, 0xbf59a7d5, v26
	v_fmac_f32_e32 v48, 0xbeb8f4ab, v27
	v_add_f32_e32 v16, v52, v16
	v_mul_f32_e32 v52, 0xbf59a7d5, v35
	v_add_f32_e32 v48, v48, v56
	v_mov_b32_e32 v56, v52
	v_add_f32_e32 v49, v55, v49
	v_fmac_f32_e32 v52, 0xbf06c442, v27
	v_mul_f32_e32 v55, 0x3f4c4adb, v39
	v_add_f32_e32 v52, v52, v57
	v_fma_f32 v57, v26, s21, -v55
	v_mul_f32_e32 v39, 0x3f2c7751, v39
	v_fmac_f32_e32 v55, 0xbf1a4643, v26
	v_add_f32_e32 v51, v57, v51
	v_mov_b32_e32 v57, v39
	v_fmac_f32_e32 v53, 0x3f65296c, v27
	v_add_f32_e32 v50, v55, v50
	v_mul_f32_e32 v55, 0xbf1a4643, v35
	v_fmac_f32_e32 v57, 0x3f3d2fb0, v26
	v_mul_f32_e32 v35, 0x3f3d2fb0, v35
	v_fma_f32 v26, v26, s16, -v39
	v_add_f32_e32 v53, v53, v58
	v_mov_b32_e32 v58, v55
	v_add_f32_e32 v54, v57, v54
	v_mov_b32_e32 v57, v35
	v_add_f32_e32 v19, v26, v19
	v_mul_f32_e32 v26, 0xbf763a35, v10
	v_fmac_f32_e32 v56, 0x3f06c442, v27
	v_fmac_f32_e32 v58, 0xbf4c4adb, v27
	;; [unrolled: 1-line block ×5, first 2 shown]
	v_fma_f32 v27, v34, s20, -v26
	v_fmac_f32_e32 v26, 0xbe8c1d8e, v34
	v_add_f32_e32 v21, v26, v21
	v_mul_f32_e32 v26, 0xbe8c1d8e, v37
	v_add_f32_e32 v20, v35, v20
	v_mov_b32_e32 v35, v26
	v_fmac_f32_e32 v26, 0xbf763a35, v9
	v_add_f32_e32 v23, v26, v23
	v_mul_f32_e32 v26, 0x3f06c442, v10
	v_add_f32_e32 v22, v27, v22
	v_fma_f32 v27, v34, s22, -v26
	v_fmac_f32_e32 v26, 0xbf59a7d5, v34
	v_fmac_f32_e32 v35, 0x3f763a35, v9
	v_add_f32_e32 v24, v26, v24
	v_mul_f32_e32 v26, 0xbf59a7d5, v37
	v_add_f32_e32 v28, v35, v28
	v_mov_b32_e32 v35, v26
	v_add_f32_e32 v25, v27, v25
	v_fmac_f32_e32 v26, 0x3f06c442, v9
	v_mul_f32_e32 v27, 0x3f2c7751, v10
	v_fmac_f32_e32 v35, 0xbf06c442, v9
	v_add_f32_e32 v26, v26, v32
	v_fma_f32 v32, v34, s16, -v27
	v_add_f32_e32 v35, v35, v36
	v_fmac_f32_e32 v27, 0x3f3d2fb0, v34
	v_mul_f32_e32 v36, 0x3f3d2fb0, v37
	v_add_f32_e32 v32, v32, v11
	v_mul_f32_e32 v11, 0xbf65296c, v10
	v_add_f32_e32 v27, v27, v38
	v_mov_b32_e32 v38, v36
	v_fmac_f32_e32 v36, 0x3f2c7751, v9
	v_fma_f32 v39, v34, s15, -v11
	v_fmac_f32_e32 v11, 0x3ee437d1, v34
	v_add_f32_e32 v36, v36, v40
	v_add_f32_e32 v40, v11, v12
	v_mul_f32_e32 v11, 0x3ee437d1, v37
	v_mov_b32_e32 v12, v11
	v_fmac_f32_e32 v11, 0xbf65296c, v9
	v_fmac_f32_e32 v38, 0xbf2c7751, v9
	v_fmac_f32_e32 v12, 0x3f65296c, v9
	v_add_f32_e32 v41, v11, v41
	v_mul_f32_e32 v11, 0xbe3c28d5, v10
	v_add_f32_e32 v38, v38, v42
	v_add_f32_e32 v42, v12, v48
	v_fma_f32 v12, v34, s23, -v11
	v_fmac_f32_e32 v11, 0xbf7ba420, v34
	v_add_f32_e32 v48, v11, v14
	v_mul_f32_e32 v11, 0xbf7ba420, v37
	v_add_f32_e32 v63, v63, v67
	v_add_f32_e32 v39, v39, v13
	v_mov_b32_e32 v13, v11
	v_fmac_f32_e32 v11, 0xbe3c28d5, v9
	v_add_f32_e32 v59, v59, v63
	v_add_f32_e32 v47, v11, v47
	v_mul_f32_e32 v11, 0x3f7ee86f, v10
	v_add_f32_e32 v60, v60, v64
	v_add_f32_e32 v55, v55, v59
	;; [unrolled: 1-line block ×3, first 2 shown]
	v_fma_f32 v12, v34, s18, -v11
	v_fmac_f32_e32 v11, 0x3dbcf732, v34
	v_add_f32_e32 v56, v56, v60
	v_fmac_f32_e32 v13, 0x3e3c28d5, v9
	v_add_f32_e32 v60, v11, v16
	v_mul_f32_e32 v11, 0x3dbcf732, v37
	v_add_f32_e32 v53, v13, v53
	v_mov_b32_e32 v13, v11
	v_fmac_f32_e32 v11, 0x3f7ee86f, v9
	v_add_f32_e32 v52, v11, v52
	v_mul_f32_e32 v11, 0xbeb8f4ab, v10
	v_add_f32_e32 v49, v12, v49
	v_fma_f32 v12, v34, s17, -v11
	v_fmac_f32_e32 v11, 0x3f6eb680, v34
	v_fmac_f32_e32 v13, 0xbf7ee86f, v9
	v_add_f32_e32 v50, v11, v50
	v_mul_f32_e32 v11, 0x3f6eb680, v37
	v_add_f32_e32 v56, v13, v56
	v_mov_b32_e32 v13, v11
	v_fmac_f32_e32 v11, 0xbeb8f4ab, v9
	v_mul_f32_e32 v10, 0xbf4c4adb, v10
	v_add_f32_e32 v55, v11, v55
	v_mov_b32_e32 v11, v10
	v_fmac_f32_e32 v11, 0xbf1a4643, v34
	v_add_f32_e32 v66, v69, v66
	v_add_f32_e32 v54, v11, v54
	v_mul_f32_e32 v11, 0xbf1a4643, v37
	v_add_f32_e32 v65, v65, v68
	v_add_f32_e32 v62, v62, v66
	v_add_f32_e32 v51, v12, v51
	v_mov_b32_e32 v12, v11
	v_add_f32_e32 v61, v61, v65
	v_add_f32_e32 v58, v58, v62
	v_fmac_f32_e32 v13, 0x3eb8f4ab, v9
	v_fmac_f32_e32 v12, 0x3f4c4adb, v9
	v_fma_f32 v10, v34, s21, -v10
	v_fmac_f32_e32 v11, 0xbf4c4adb, v9
	v_mul_f32_e32 v9, 0xbf4c4adb, v43
	v_mul_f32_e32 v16, 0xbe8c1d8e, v44
	v_add_f32_e32 v57, v57, v61
	v_add_f32_e32 v58, v13, v58
	;; [unrolled: 1-line block ×4, first 2 shown]
	v_fma_f32 v11, v45, s21, -v9
	v_fmac_f32_e32 v9, 0xbf1a4643, v45
	v_mul_f32_e32 v13, 0x3f763a35, v43
	v_mov_b32_e32 v14, v16
	v_fmac_f32_e32 v16, 0x3f763a35, v46
	v_mul_f32_e32 v19, 0xbeb8f4ab, v43
	v_add_f32_e32 v57, v12, v57
	v_add_f32_e32 v9, v9, v21
	v_mul_f32_e32 v12, 0xbf1a4643, v44
	v_add_f32_e32 v11, v11, v22
	v_fma_f32 v15, v45, s20, -v13
	v_fmac_f32_e32 v13, 0xbe8c1d8e, v45
	v_add_f32_e32 v16, v16, v26
	v_fma_f32 v21, v45, s17, -v19
	v_fmac_f32_e32 v19, 0x3f6eb680, v45
	v_mul_f32_e32 v22, 0x3f6eb680, v44
	v_mul_f32_e32 v26, 0xbf59a7d5, v44
	v_mov_b32_e32 v10, v12
	v_fmac_f32_e32 v12, 0xbf4c4adb, v46
	v_add_f32_e32 v13, v13, v24
	v_add_f32_e32 v19, v19, v27
	v_mov_b32_e32 v20, v22
	v_mov_b32_e32 v24, v26
	v_mul_f32_e32 v27, 0x3f7ee86f, v43
	v_fmac_f32_e32 v10, 0x3f4c4adb, v46
	v_add_f32_e32 v12, v12, v23
	v_fmac_f32_e32 v20, 0x3eb8f4ab, v46
	v_add_f32_e32 v21, v21, v32
	v_mul_f32_e32 v23, 0xbf06c442, v43
	v_fmac_f32_e32 v24, 0x3f06c442, v46
	v_fma_f32 v32, v45, s18, -v27
	v_fmac_f32_e32 v27, 0x3dbcf732, v45
	v_mul_f32_e32 v34, 0x3dbcf732, v44
	v_add_f32_e32 v10, v10, v28
	v_add_f32_e32 v15, v15, v25
	;; [unrolled: 1-line block ×3, first 2 shown]
	v_fmac_f32_e32 v22, 0xbeb8f4ab, v46
	v_fma_f32 v25, v45, s22, -v23
	v_fmac_f32_e32 v23, 0xbf59a7d5, v45
	v_add_f32_e32 v24, v24, v42
	v_add_f32_e32 v27, v27, v48
	v_mov_b32_e32 v28, v34
	v_fmac_f32_e32 v34, 0x3f7ee86f, v46
	v_mul_f32_e32 v38, 0x3f3d2fb0, v44
	v_mul_f32_e32 v42, 0xbf7ba420, v44
	;; [unrolled: 1-line block ×3, first 2 shown]
	v_fmac_f32_e32 v14, 0xbf763a35, v46
	v_add_f32_e32 v22, v22, v36
	v_add_f32_e32 v23, v23, v40
	;; [unrolled: 1-line block ×3, first 2 shown]
	v_mov_b32_e32 v36, v38
	v_mov_b32_e32 v40, v42
	v_mul_f32_e32 v47, 0x3f65296c, v43
	v_mov_b32_e32 v44, v48
	v_fmac_f32_e32 v48, 0x3f65296c, v46
	v_add_f32_e32 v14, v14, v35
	v_add_f32_e32 v25, v25, v39
	v_fmac_f32_e32 v26, 0xbf06c442, v46
	v_fmac_f32_e32 v28, 0xbf7ee86f, v46
	v_mul_f32_e32 v35, 0xbf2c7751, v43
	v_fmac_f32_e32 v36, 0x3f2c7751, v46
	v_fmac_f32_e32 v38, 0xbf2c7751, v46
	v_mul_f32_e32 v39, 0xbe3c28d5, v43
	v_fmac_f32_e32 v40, 0x3e3c28d5, v46
	v_fmac_f32_e32 v42, 0xbe3c28d5, v46
	v_mov_b32_e32 v43, v47
	v_fmac_f32_e32 v44, 0xbf65296c, v46
	v_add_f32_e32 v46, v48, v62
	v_add_f32_e32 v48, v8, v2
	v_sub_f32_e32 v2, v2, v8
	v_add_f32_e32 v26, v26, v41
	v_fma_f32 v37, v45, s16, -v35
	v_fmac_f32_e32 v35, 0x3f3d2fb0, v45
	v_fma_f32 v41, v45, s23, -v39
	v_fmac_f32_e32 v39, 0xbf7ba420, v45
	v_fmac_f32_e32 v43, 0x3ee437d1, v45
	v_fma_f32 v45, v45, s15, -v47
	v_add_f32_e32 v47, v7, v1
	v_sub_f32_e32 v1, v1, v7
	v_mul_f32_e32 v7, 0xbf06c442, v2
	v_fma_f32 v8, v47, s22, -v7
	v_fmac_f32_e32 v7, 0xbf59a7d5, v47
	v_add_f32_e32 v7, v7, v9
	v_mul_f32_e32 v9, 0xbf59a7d5, v48
	v_add_f32_e32 v37, v37, v49
	v_mov_b32_e32 v49, v9
	v_add_f32_e32 v8, v8, v11
	v_fmac_f32_e32 v9, 0xbf06c442, v1
	v_mul_f32_e32 v11, 0x3f65296c, v2
	v_add_f32_e32 v9, v9, v12
	v_fma_f32 v12, v47, s15, -v11
	v_fmac_f32_e32 v11, 0x3ee437d1, v47
	v_fmac_f32_e32 v49, 0x3f06c442, v1
	v_add_f32_e32 v11, v11, v13
	v_mul_f32_e32 v13, 0x3ee437d1, v48
	v_add_f32_e32 v10, v49, v10
	v_mov_b32_e32 v49, v13
	v_add_f32_e32 v12, v12, v15
	v_fmac_f32_e32 v13, 0x3f65296c, v1
	v_mul_f32_e32 v15, 0xbf7ee86f, v2
	v_add_f32_e32 v13, v13, v16
	v_fma_f32 v16, v47, s18, -v15
	v_fmac_f32_e32 v15, 0x3dbcf732, v47
	;; [unrolled: 11-line block ×4, first 2 shown]
	v_add_f32_e32 v32, v32, v59
	v_fmac_f32_e32 v49, 0xbf4c4adb, v1
	v_add_f32_e32 v25, v25, v27
	v_mul_f32_e32 v27, 0x3f6eb680, v48
	v_add_f32_e32 v24, v49, v24
	v_mov_b32_e32 v49, v27
	v_add_f32_e32 v26, v26, v32
	v_fmac_f32_e32 v27, 0xbeb8f4ab, v1
	v_mul_f32_e32 v32, 0xbe3c28d5, v2
	v_add_f32_e32 v35, v35, v60
	v_add_f32_e32 v27, v27, v34
	v_fma_f32 v34, v47, s23, -v32
	v_fmac_f32_e32 v32, 0xbf7ba420, v47
	v_add_f32_e32 v28, v28, v53
	v_fmac_f32_e32 v49, 0x3eb8f4ab, v1
	v_add_f32_e32 v32, v32, v35
	v_mul_f32_e32 v35, 0xbf7ba420, v48
	v_add_f32_e32 v38, v38, v52
	v_add_f32_e32 v39, v39, v50
	;; [unrolled: 1-line block ×3, first 2 shown]
	v_mov_b32_e32 v49, v35
	v_add_f32_e32 v50, v34, v37
	v_fmac_f32_e32 v35, 0xbe3c28d5, v1
	v_mul_f32_e32 v34, 0x3f2c7751, v2
	v_add_f32_e32 v41, v41, v51
	v_add_f32_e32 v51, v35, v38
	v_fma_f32 v35, v47, s16, -v34
	v_fmac_f32_e32 v34, 0x3f3d2fb0, v47
	v_add_f32_e32 v36, v36, v56
	v_fmac_f32_e32 v49, 0x3e3c28d5, v1
	v_add_f32_e32 v52, v34, v39
	v_mul_f32_e32 v34, 0x3f3d2fb0, v48
	v_add_f32_e32 v42, v42, v55
	v_add_f32_e32 v49, v49, v36
	v_mov_b32_e32 v36, v34
	v_fmac_f32_e32 v34, 0x3f2c7751, v1
	v_mul_f32_e32 v2, 0xbf763a35, v2
	v_add_f32_e32 v42, v34, v42
	v_mov_b32_e32 v34, v2
	v_add_f32_e32 v43, v43, v54
	v_fmac_f32_e32 v34, 0xbe8c1d8e, v47
	v_add_f32_e32 v43, v34, v43
	v_mul_f32_e32 v34, 0xbe8c1d8e, v48
	v_add_f32_e32 v41, v35, v41
	v_mov_b32_e32 v35, v34
	v_sub_f32_e32 v54, v4, v6
	v_add_f32_e32 v45, v45, v61
	v_fmac_f32_e32 v36, 0xbf2c7751, v1
	v_fmac_f32_e32 v35, 0x3f763a35, v1
	v_fma_f32 v2, v47, s20, -v2
	v_fmac_f32_e32 v34, 0xbf763a35, v1
	v_add_f32_e32 v47, v5, v3
	v_add_f32_e32 v48, v6, v4
	v_mul_f32_e32 v1, 0xbe3c28d5, v54
	v_add_f32_e32 v45, v2, v45
	v_sub_f32_e32 v53, v3, v5
	v_fma_f32 v2, v47, s23, -v1
	v_fmac_f32_e32 v1, 0xbf7ba420, v47
	v_mul_f32_e32 v3, 0xbf7ba420, v48
	v_add_f32_e32 v46, v34, v46
	v_add_f32_e32 v34, v1, v7
	v_mov_b32_e32 v1, v3
	v_add_f32_e32 v44, v44, v57
	v_fmac_f32_e32 v1, 0x3e3c28d5, v53
	v_fmac_f32_e32 v3, 0xbe3c28d5, v53
	v_add_f32_e32 v44, v35, v44
	v_add_f32_e32 v35, v1, v10
	;; [unrolled: 1-line block ×4, first 2 shown]
	v_mul_f32_e32 v3, 0x3eb8f4ab, v54
	v_add_f32_e32 v40, v40, v58
	v_fma_f32 v4, v47, s17, -v3
	v_fmac_f32_e32 v3, 0x3f6eb680, v47
	v_mul_f32_e32 v5, 0x3f6eb680, v48
	v_add_f32_e32 v40, v36, v40
	v_add_f32_e32 v36, v3, v11
	v_mov_b32_e32 v3, v5
	v_fmac_f32_e32 v3, 0xbeb8f4ab, v53
	v_fmac_f32_e32 v5, 0x3eb8f4ab, v53
	v_add_f32_e32 v37, v3, v14
	v_add_f32_e32 v3, v4, v12
	v_add_f32_e32 v4, v5, v13
	v_mul_f32_e32 v5, 0xbf06c442, v54
	v_fma_f32 v6, v47, s22, -v5
	v_fmac_f32_e32 v5, 0xbf59a7d5, v47
	v_mul_f32_e32 v7, 0xbf59a7d5, v48
	v_add_f32_e32 v38, v5, v15
	v_mov_b32_e32 v5, v7
	v_fmac_f32_e32 v5, 0x3f06c442, v53
	v_fmac_f32_e32 v7, 0xbf06c442, v53
	v_add_f32_e32 v39, v5, v20
	v_add_f32_e32 v5, v6, v16
	v_add_f32_e32 v6, v7, v19
	v_mul_f32_e32 v7, 0x3f2c7751, v54
	v_fma_f32 v8, v47, s16, -v7
	v_fmac_f32_e32 v7, 0x3f3d2fb0, v47
	v_mul_f32_e32 v9, 0x3f3d2fb0, v48
	;; [unrolled: 11-line block ×5, first 2 shown]
	v_add_f32_e32 v23, v21, v52
	v_mov_b32_e32 v21, v25
	v_fmac_f32_e32 v21, 0x3f763a35, v53
	v_fmac_f32_e32 v25, 0xbf763a35, v53
	v_mul_f32_e32 v27, 0x3f7ee86f, v54
	v_mul_f32_e32 v28, 0x3dbcf732, v48
	v_add_f32_e32 v24, v21, v40
	v_add_f32_e32 v21, v22, v41
	;; [unrolled: 1-line block ×3, first 2 shown]
	v_mov_b32_e32 v25, v27
	v_mov_b32_e32 v26, v28
	s_movk_i32 s24, 0x88
	v_fmac_f32_e32 v25, 0x3dbcf732, v47
	v_fmac_f32_e32 v26, 0xbf7ee86f, v53
	v_fma_f32 v27, v47, s18, -v27
	v_fmac_f32_e32 v28, 0x3f7ee86f, v53
	v_mad_u32_u24 v31, v30, s24, v31
	v_add_f32_e32 v25, v25, v43
	v_add_f32_e32 v26, v26, v44
	;; [unrolled: 1-line block ×4, first 2 shown]
	s_barrier
	ds_write2_b64 v31, v[17:18], v[34:35] offset1:1
	ds_write2_b64 v31, v[36:37], v[38:39] offset0:2 offset1:3
	ds_write2_b64 v31, v[11:12], v[13:14] offset0:4 offset1:5
	ds_write2_b64 v31, v[19:20], v[23:24] offset0:6 offset1:7
	ds_write2_b64 v31, v[25:26], v[27:28] offset0:8 offset1:9
	ds_write2_b64 v31, v[21:22], v[15:16] offset0:10 offset1:11
	ds_write2_b64 v31, v[9:10], v[7:8] offset0:12 offset1:13
	ds_write2_b64 v31, v[5:6], v[3:4] offset0:14 offset1:15
	ds_write_b64 v31, v[1:2] offset:128
	v_lshlrev_b32_e32 v9, 7, v30
	s_waitcnt lgkmcnt(0)
	s_barrier
	global_load_dwordx4 v[1:4], v9, s[8:9]
	global_load_dwordx4 v[5:8], v9, s[8:9] offset:16
	global_load_dwordx4 v[10:13], v9, s[8:9] offset:32
	;; [unrolled: 1-line block ×7, first 2 shown]
	ds_read2_b64 v[14:17], v33 offset0:17 offset1:34
	ds_read_b64 v[58:59], v29
	ds_read2_b64 v[29:32], v33 offset0:68 offset1:85
	s_mul_i32 s8, s13, s1
	s_mul_hi_u32 s9, s12, s1
	s_mul_i32 s26, s26, s14
	s_add_i32 s9, s9, s8
	s_mul_i32 s8, s12, s1
	s_add_u32 s8, s8, s26
	s_mul_i32 s11, s11, s19
	s_mul_hi_u32 s14, s10, s19
	s_addc_u32 s9, s9, 0
	s_add_i32 s14, s14, s11
	s_mul_i32 s10, s10, s19
	s_add_u32 s8, s8, s10
	s_addc_u32 s9, s9, s14
	s_andn2_b64 vcc, exec, s[6:7]
	s_waitcnt vmcnt(7) lgkmcnt(2)
	v_mul_f32_e32 v62, v2, v15
	v_mul_f32_e32 v2, v2, v14
	v_fmac_f32_e32 v62, v1, v14
	v_fma_f32 v63, v1, v15, -v2
	ds_read2_b32 v[14:15], v33 offset0:102 offset1:103
	v_mul_f32_e32 v64, v4, v17
	v_mul_f32_e32 v1, v4, v16
	v_fmac_f32_e32 v64, v3, v16
	v_fma_f32 v65, v3, v17, -v1
	ds_read2_b64 v[1:4], v33 offset0:102 offset1:119
	ds_read2_b64 v[50:53], v33 offset0:136 offset1:153
	ds_read_b64 v[60:61], v33 offset:2176
	s_waitcnt vmcnt(6) lgkmcnt(3)
	v_mul_f32_e32 v23, v15, v6
	v_mul_f32_e32 v6, v6, v14
	v_fmac_f32_e32 v23, v5, v14
	v_fma_f32 v24, v15, v5, -v6
	v_mul_f32_e32 v5, v29, v8
	v_mul_f32_e32 v19, v30, v8
	v_fma_f32 v20, v30, v7, -v5
	s_waitcnt vmcnt(5)
	v_mul_f32_e32 v15, v32, v11
	v_mul_f32_e32 v5, v31, v11
	s_waitcnt lgkmcnt(2)
	v_mul_f32_e32 v11, v2, v13
	v_fmac_f32_e32 v19, v29, v7
	v_fmac_f32_e32 v15, v31, v10
	v_fma_f32 v16, v32, v10, -v5
	ds_read2_b64 v[29:32], v33 offset0:170 offset1:187
	v_fmac_f32_e32 v11, v1, v12
	v_mul_f32_e32 v1, v1, v13
	v_fma_f32 v12, v2, v12, -v1
	s_waitcnt vmcnt(4)
	v_mul_f32_e32 v1, v3, v26
	v_mul_f32_e32 v7, v4, v26
	v_fma_f32 v8, v4, v25, -v1
	ds_read2_b64 v[54:57], v33 offset0:204 offset1:221
	s_waitcnt lgkmcnt(3)
	v_mul_f32_e32 v1, v50, v28
	v_fmac_f32_e32 v7, v3, v25
	v_mul_f32_e32 v3, v51, v28
	v_fma_f32 v4, v51, v27, -v1
	s_waitcnt vmcnt(3)
	v_mul_f32_e32 v5, v53, v35
	v_mul_f32_e32 v1, v52, v35
	v_fmac_f32_e32 v3, v50, v27
	v_fmac_f32_e32 v5, v52, v34
	v_fma_f32 v6, v53, v34, -v1
	ds_read2_b64 v[50:53], v33 offset0:238 offset1:255
	s_waitcnt lgkmcnt(2)
	v_mul_f32_e32 v1, v29, v37
	v_fma_f32 v10, v30, v36, -v1
	s_waitcnt vmcnt(2)
	v_mul_f32_e32 v1, v31, v39
	v_fma_f32 v14, v32, v38, -v1
	s_waitcnt lgkmcnt(1)
	v_mul_f32_e32 v1, v54, v41
	v_fma_f32 v18, v55, v40, -v1
	s_waitcnt vmcnt(1)
	v_mul_f32_e32 v1, v56, v43
	v_fma_f32 v22, v57, v42, -v1
	s_waitcnt lgkmcnt(0)
	v_mul_f32_e32 v1, v50, v45
	v_add_f32_e32 v2, v63, v59
	v_fma_f32 v26, v51, v44, -v1
	s_waitcnt vmcnt(0)
	v_mul_f32_e32 v1, v52, v47
	v_add_f32_e32 v2, v2, v65
	v_fma_f32 v28, v53, v46, -v1
	v_mul_f32_e32 v1, v60, v49
	v_add_f32_e32 v2, v2, v24
	v_mul_f32_e32 v9, v30, v37
	v_fma_f32 v30, v61, v48, -v1
	v_add_f32_e32 v1, v62, v58
	v_add_f32_e32 v2, v2, v20
	;; [unrolled: 1-line block ×16, first 2 shown]
	v_fmac_f32_e32 v9, v29, v36
	v_mul_f32_e32 v13, v32, v39
	v_add_f32_e32 v1, v1, v5
	v_add_f32_e32 v2, v2, v18
	v_fmac_f32_e32 v13, v31, v38
	v_mul_f32_e32 v17, v55, v41
	v_add_f32_e32 v1, v1, v9
	v_add_f32_e32 v2, v2, v22
	;; [unrolled: 4-line block ×4, first 2 shown]
	v_fmac_f32_e32 v25, v50, v44
	v_mul_f32_e32 v27, v53, v47
	v_mul_f32_e32 v29, v61, v49
	v_add_f32_e32 v1, v1, v21
	v_add_f32_e32 v2, v2, v30
	;; [unrolled: 1-line block ×3, first 2 shown]
	v_sub_f32_e32 v30, v63, v30
	v_fmac_f32_e32 v27, v52, v46
	v_fmac_f32_e32 v29, v60, v48
	v_add_f32_e32 v1, v1, v25
	v_mul_f32_e32 v34, 0xbeb8f4ab, v30
	v_mul_f32_e32 v36, 0xbf2c7751, v30
	;; [unrolled: 1-line block ×8, first 2 shown]
	v_add_f32_e32 v1, v1, v27
	v_add_f32_e32 v31, v62, v29
	v_mov_b32_e32 v48, v30
	v_add_f32_e32 v1, v1, v29
	v_sub_f32_e32 v29, v62, v29
	v_fma_f32 v35, v31, s17, -v34
	v_fmac_f32_e32 v34, 0x3f6eb680, v31
	v_fma_f32 v37, v31, s16, -v36
	v_fmac_f32_e32 v36, 0x3f3d2fb0, v31
	v_fma_f32 v39, v31, s15, -v38
	v_fmac_f32_e32 v38, 0x3ee437d1, v31
	v_fma_f32 v41, v31, s18, -v40
	v_fmac_f32_e32 v40, 0x3dbcf732, v31
	v_fma_f32 v43, v31, s20, -v42
	v_fmac_f32_e32 v42, 0xbe8c1d8e, v31
	v_fma_f32 v45, v31, s21, -v44
	v_fmac_f32_e32 v44, 0xbf1a4643, v31
	v_fma_f32 v47, v31, s22, -v46
	v_fmac_f32_e32 v46, 0xbf59a7d5, v31
	v_fmac_f32_e32 v48, 0xbf7ba420, v31
	v_fma_f32 v30, v31, s23, -v30
	v_mul_f32_e32 v31, 0x3f6eb680, v32
	v_mul_f32_e32 v50, 0x3f3d2fb0, v32
	;; [unrolled: 1-line block ×8, first 2 shown]
	v_mov_b32_e32 v49, v31
	v_mov_b32_e32 v51, v50
	;; [unrolled: 1-line block ×8, first 2 shown]
	v_fmac_f32_e32 v49, 0x3eb8f4ab, v29
	v_fmac_f32_e32 v31, 0xbeb8f4ab, v29
	;; [unrolled: 1-line block ×16, first 2 shown]
	v_add_f32_e32 v29, v34, v58
	v_add_f32_e32 v34, v49, v59
	;; [unrolled: 1-line block ×18, first 2 shown]
	v_sub_f32_e32 v28, v65, v28
	v_add_f32_e32 v35, v35, v58
	v_add_f32_e32 v36, v36, v58
	v_add_f32_e32 v37, v37, v58
	v_add_f32_e32 v38, v38, v58
	v_add_f32_e32 v39, v39, v58
	v_add_f32_e32 v40, v40, v58
	v_add_f32_e32 v41, v41, v58
	v_add_f32_e32 v42, v42, v58
	v_add_f32_e32 v43, v43, v58
	v_add_f32_e32 v44, v44, v58
	v_add_f32_e32 v45, v45, v58
	v_add_f32_e32 v46, v46, v58
	v_add_f32_e32 v47, v47, v58
	v_add_f32_e32 v48, v48, v58
	v_add_f32_e32 v30, v30, v58
	v_add_f32_e32 v58, v64, v27
	v_sub_f32_e32 v27, v64, v27
	v_mul_f32_e32 v64, 0xbf2c7751, v28
	v_fma_f32 v65, v58, s16, -v64
	v_fmac_f32_e32 v64, 0x3f3d2fb0, v58
	v_add_f32_e32 v29, v64, v29
	v_mul_f32_e32 v64, 0x3f3d2fb0, v59
	v_mov_b32_e32 v66, v64
	v_fmac_f32_e32 v64, 0xbf2c7751, v27
	v_add_f32_e32 v31, v64, v31
	v_mul_f32_e32 v64, 0xbf7ee86f, v28
	v_add_f32_e32 v35, v65, v35
	v_fma_f32 v65, v58, s18, -v64
	v_fmac_f32_e32 v64, 0x3dbcf732, v58
	v_fmac_f32_e32 v66, 0x3f2c7751, v27
	v_add_f32_e32 v36, v64, v36
	v_mul_f32_e32 v64, 0x3dbcf732, v59
	v_add_f32_e32 v34, v66, v34
	v_mov_b32_e32 v66, v64
	v_fmac_f32_e32 v64, 0xbf7ee86f, v27
	v_add_f32_e32 v50, v64, v50
	v_mul_f32_e32 v64, 0xbf4c4adb, v28
	v_add_f32_e32 v37, v65, v37
	v_fma_f32 v65, v58, s21, -v64
	v_fmac_f32_e32 v64, 0xbf1a4643, v58
	v_fmac_f32_e32 v66, 0x3f7ee86f, v27
	v_add_f32_e32 v38, v64, v38
	v_mul_f32_e32 v64, 0xbf1a4643, v59
	v_add_f32_e32 v49, v66, v49
	;; [unrolled: 11-line block ×6, first 2 shown]
	v_mov_b32_e32 v66, v64
	v_fmac_f32_e32 v64, 0x3f65296c, v27
	v_mul_f32_e32 v28, 0x3eb8f4ab, v28
	v_add_f32_e32 v62, v64, v62
	v_mov_b32_e32 v64, v28
	v_fma_f32 v28, v58, s17, -v28
	v_fmac_f32_e32 v64, 0x3f6eb680, v58
	v_mul_f32_e32 v59, 0x3f6eb680, v59
	v_add_f32_e32 v28, v28, v30
	v_add_f32_e32 v30, v23, v25
	v_sub_f32_e32 v23, v23, v25
	v_add_f32_e32 v25, v24, v26
	v_sub_f32_e32 v24, v24, v26
	v_add_f32_e32 v48, v64, v48
	v_mov_b32_e32 v64, v59
	v_fmac_f32_e32 v59, 0x3eb8f4ab, v27
	v_mul_f32_e32 v26, 0xbf65296c, v24
	v_fmac_f32_e32 v66, 0xbf65296c, v27
	v_fmac_f32_e32 v64, 0xbeb8f4ab, v27
	v_add_f32_e32 v27, v59, v32
	v_fma_f32 v32, v30, s15, -v26
	v_fmac_f32_e32 v26, 0x3ee437d1, v30
	v_add_f32_e32 v26, v26, v29
	v_mul_f32_e32 v29, 0x3ee437d1, v25
	v_mov_b32_e32 v58, v29
	v_fmac_f32_e32 v29, 0xbf65296c, v23
	v_add_f32_e32 v29, v29, v31
	v_mul_f32_e32 v31, 0xbf4c4adb, v24
	v_add_f32_e32 v32, v32, v35
	v_fma_f32 v35, v30, s21, -v31
	v_fmac_f32_e32 v31, 0xbf1a4643, v30
	v_fmac_f32_e32 v58, 0x3f65296c, v23
	v_add_f32_e32 v31, v31, v36
	v_mul_f32_e32 v36, 0xbf1a4643, v25
	v_add_f32_e32 v34, v58, v34
	v_mov_b32_e32 v58, v36
	v_add_f32_e32 v35, v35, v37
	v_fmac_f32_e32 v36, 0xbf4c4adb, v23
	v_mul_f32_e32 v37, 0x3e3c28d5, v24
	v_add_f32_e32 v36, v36, v50
	v_fma_f32 v50, v30, s23, -v37
	v_fmac_f32_e32 v37, 0xbf7ba420, v30
	v_fmac_f32_e32 v58, 0x3f4c4adb, v23
	v_add_f32_e32 v37, v37, v38
	v_mul_f32_e32 v38, 0xbf7ba420, v25
	v_add_f32_e32 v49, v58, v49
	v_mov_b32_e32 v58, v38
	v_add_f32_e32 v39, v50, v39
	v_fmac_f32_e32 v38, 0x3e3c28d5, v23
	;; [unrolled: 11-line block ×4, first 2 shown]
	v_mul_f32_e32 v54, 0xbeb8f4ab, v24
	v_add_f32_e32 v52, v52, v56
	v_fma_f32 v56, v30, s17, -v54
	v_fmac_f32_e32 v54, 0x3f6eb680, v30
	v_fmac_f32_e32 v58, 0xbf2c7751, v23
	v_add_f32_e32 v44, v54, v44
	v_mul_f32_e32 v54, 0x3f6eb680, v25
	v_add_f32_e32 v55, v58, v55
	v_mov_b32_e32 v58, v54
	v_fmac_f32_e32 v58, 0x3eb8f4ab, v23
	v_add_f32_e32 v45, v56, v45
	v_mul_f32_e32 v56, 0xbf7ee86f, v24
	v_add_f32_e32 v47, v65, v47
	v_add_f32_e32 v57, v58, v57
	v_fma_f32 v58, v30, s18, -v56
	v_mul_f32_e32 v24, 0xbf06c442, v24
	v_fmac_f32_e32 v56, 0x3dbcf732, v30
	v_add_f32_e32 v47, v58, v47
	v_mov_b32_e32 v58, v24
	v_add_f32_e32 v46, v56, v46
	v_mul_f32_e32 v56, 0x3dbcf732, v25
	v_fmac_f32_e32 v58, 0xbf59a7d5, v30
	v_mul_f32_e32 v25, 0xbf59a7d5, v25
	v_mov_b32_e32 v59, v56
	v_add_f32_e32 v48, v58, v48
	v_mov_b32_e32 v58, v25
	v_fmac_f32_e32 v25, 0xbf06c442, v23
	v_fmac_f32_e32 v54, 0xbeb8f4ab, v23
	;; [unrolled: 1-line block ×5, first 2 shown]
	v_add_f32_e32 v23, v25, v27
	v_add_f32_e32 v25, v19, v21
	v_sub_f32_e32 v19, v19, v21
	v_add_f32_e32 v21, v20, v22
	v_sub_f32_e32 v20, v20, v22
	v_mul_f32_e32 v22, 0xbf7ee86f, v20
	v_fma_f32 v27, v25, s18, -v22
	v_fmac_f32_e32 v22, 0x3dbcf732, v25
	v_fma_f32 v24, v30, s22, -v24
	v_add_f32_e32 v22, v22, v26
	v_mul_f32_e32 v26, 0x3dbcf732, v21
	v_add_f32_e32 v24, v24, v28
	v_mov_b32_e32 v28, v26
	v_fmac_f32_e32 v26, 0xbf7ee86f, v19
	v_add_f32_e32 v26, v26, v29
	v_mul_f32_e32 v29, 0xbe3c28d5, v20
	v_fma_f32 v30, v25, s23, -v29
	v_fmac_f32_e32 v29, 0xbf7ba420, v25
	v_fmac_f32_e32 v28, 0x3f7ee86f, v19
	v_add_f32_e32 v29, v29, v31
	v_mul_f32_e32 v31, 0xbf7ba420, v21
	v_add_f32_e32 v28, v28, v34
	v_add_f32_e32 v27, v27, v32
	v_mov_b32_e32 v32, v31
	v_fmac_f32_e32 v31, 0xbe3c28d5, v19
	v_mul_f32_e32 v34, 0x3f763a35, v20
	v_add_f32_e32 v30, v30, v35
	v_add_f32_e32 v31, v31, v36
	v_fma_f32 v35, v25, s20, -v34
	v_fmac_f32_e32 v34, 0xbe8c1d8e, v25
	v_mul_f32_e32 v36, 0xbe8c1d8e, v21
	v_add_f32_e32 v34, v34, v37
	v_mov_b32_e32 v37, v36
	v_fmac_f32_e32 v36, 0x3f763a35, v19
	v_add_f32_e32 v36, v36, v38
	v_mul_f32_e32 v38, 0x3eb8f4ab, v20
	v_add_f32_e32 v35, v35, v39
	v_fma_f32 v39, v25, s17, -v38
	v_fmac_f32_e32 v38, 0x3f6eb680, v25
	v_fmac_f32_e32 v32, 0x3e3c28d5, v19
	v_add_f32_e32 v38, v38, v40
	v_mul_f32_e32 v40, 0x3f6eb680, v21
	v_add_f32_e32 v32, v32, v49
	v_mov_b32_e32 v49, v40
	v_add_f32_e32 v39, v39, v41
	v_fmac_f32_e32 v40, 0x3eb8f4ab, v19
	v_mul_f32_e32 v41, 0xbf65296c, v20
	v_add_f32_e32 v40, v40, v50
	v_fma_f32 v50, v25, s15, -v41
	v_fmac_f32_e32 v41, 0x3ee437d1, v25
	v_fmac_f32_e32 v37, 0xbf763a35, v19
	v_add_f32_e32 v41, v41, v42
	v_mul_f32_e32 v42, 0x3ee437d1, v21
	v_add_f32_e32 v37, v37, v51
	v_mov_b32_e32 v51, v42
	v_add_f32_e32 v43, v50, v43
	v_fmac_f32_e32 v42, 0xbf65296c, v19
	v_mul_f32_e32 v50, 0xbf06c442, v20
	v_add_f32_e32 v42, v42, v52
	v_fma_f32 v52, v25, s22, -v50
	v_fmac_f32_e32 v50, 0xbf59a7d5, v25
	v_fmac_f32_e32 v49, 0xbeb8f4ab, v19
	v_add_f32_e32 v44, v50, v44
	v_mul_f32_e32 v50, 0xbf59a7d5, v21
	v_add_f32_e32 v54, v54, v60
	v_add_f32_e32 v49, v49, v53
	v_mov_b32_e32 v53, v50
	v_add_f32_e32 v45, v52, v45
	v_fmac_f32_e32 v50, 0xbf06c442, v19
	v_mul_f32_e32 v52, 0x3f4c4adb, v20
	v_add_f32_e32 v50, v50, v54
	v_fma_f32 v54, v25, s21, -v52
	v_mul_f32_e32 v20, 0x3f2c7751, v20
	v_fmac_f32_e32 v52, 0xbf1a4643, v25
	v_add_f32_e32 v47, v54, v47
	v_mov_b32_e32 v54, v20
	v_fmac_f32_e32 v51, 0x3f65296c, v19
	v_add_f32_e32 v46, v52, v46
	v_mul_f32_e32 v52, 0xbf1a4643, v21
	v_fmac_f32_e32 v54, 0x3f3d2fb0, v25
	v_mul_f32_e32 v21, 0x3f3d2fb0, v21
	v_add_f32_e32 v51, v51, v55
	v_mov_b32_e32 v55, v52
	v_add_f32_e32 v48, v54, v48
	v_mov_b32_e32 v54, v21
	v_fmac_f32_e32 v21, 0x3f2c7751, v19
	v_fmac_f32_e32 v53, 0x3f06c442, v19
	;; [unrolled: 1-line block ×5, first 2 shown]
	v_add_f32_e32 v19, v21, v23
	v_add_f32_e32 v21, v15, v17
	v_sub_f32_e32 v15, v15, v17
	v_add_f32_e32 v17, v16, v18
	v_sub_f32_e32 v16, v16, v18
	v_mul_f32_e32 v18, 0xbf763a35, v16
	v_fma_f32 v23, v21, s20, -v18
	v_fmac_f32_e32 v18, 0xbe8c1d8e, v21
	v_fma_f32 v20, v25, s16, -v20
	v_add_f32_e32 v18, v18, v22
	v_mul_f32_e32 v22, 0xbe8c1d8e, v17
	v_add_f32_e32 v20, v20, v24
	v_mov_b32_e32 v24, v22
	v_fmac_f32_e32 v22, 0xbf763a35, v15
	v_mul_f32_e32 v25, 0x3f06c442, v16
	v_fmac_f32_e32 v24, 0x3f763a35, v15
	v_add_f32_e32 v23, v23, v27
	v_add_f32_e32 v22, v22, v26
	v_fma_f32 v26, v21, s22, -v25
	v_fmac_f32_e32 v25, 0xbf59a7d5, v21
	v_mul_f32_e32 v27, 0xbf59a7d5, v17
	v_add_f32_e32 v24, v24, v28
	v_add_f32_e32 v25, v25, v29
	v_mov_b32_e32 v28, v27
	v_fmac_f32_e32 v27, 0x3f06c442, v15
	v_mul_f32_e32 v29, 0x3f2c7751, v16
	v_fmac_f32_e32 v28, 0xbf06c442, v15
	v_add_f32_e32 v26, v26, v30
	v_add_f32_e32 v27, v27, v31
	v_fma_f32 v30, v21, s16, -v29
	v_fmac_f32_e32 v29, 0x3f3d2fb0, v21
	v_mul_f32_e32 v31, 0x3f3d2fb0, v17
	v_add_f32_e32 v28, v28, v32
	;; [unrolled: 11-line block ×3, first 2 shown]
	v_add_f32_e32 v34, v34, v38
	v_mov_b32_e32 v37, v36
	v_fmac_f32_e32 v36, 0xbf65296c, v15
	v_mul_f32_e32 v38, 0xbe3c28d5, v16
	v_add_f32_e32 v35, v35, v39
	v_add_f32_e32 v36, v36, v40
	v_fma_f32 v39, v21, s23, -v38
	v_fmac_f32_e32 v38, 0xbf7ba420, v21
	v_mul_f32_e32 v40, 0xbf7ba420, v17
	v_add_f32_e32 v38, v38, v41
	v_mov_b32_e32 v41, v40
	v_fmac_f32_e32 v40, 0xbe3c28d5, v15
	v_add_f32_e32 v40, v40, v42
	v_mul_f32_e32 v42, 0x3f7ee86f, v16
	v_add_f32_e32 v39, v39, v43
	v_fma_f32 v43, v21, s18, -v42
	v_fmac_f32_e32 v42, 0x3dbcf732, v21
	v_fmac_f32_e32 v37, 0x3f65296c, v15
	v_add_f32_e32 v42, v42, v44
	v_mul_f32_e32 v44, 0x3dbcf732, v17
	v_add_f32_e32 v37, v37, v49
	v_mov_b32_e32 v49, v44
	v_add_f32_e32 v43, v43, v45
	v_fmac_f32_e32 v44, 0x3f7ee86f, v15
	v_mul_f32_e32 v45, 0xbeb8f4ab, v16
	v_add_f32_e32 v44, v44, v50
	v_fma_f32 v50, v21, s17, -v45
	v_mul_f32_e32 v16, 0xbf4c4adb, v16
	v_fmac_f32_e32 v45, 0x3f6eb680, v21
	v_add_f32_e32 v47, v50, v47
	v_mov_b32_e32 v50, v16
	v_fmac_f32_e32 v41, 0x3e3c28d5, v15
	v_add_f32_e32 v45, v45, v46
	v_mul_f32_e32 v46, 0x3f6eb680, v17
	v_fmac_f32_e32 v50, 0xbf1a4643, v21
	v_mul_f32_e32 v17, 0xbf1a4643, v17
	v_add_f32_e32 v41, v41, v51
	v_mov_b32_e32 v51, v46
	v_add_f32_e32 v48, v50, v48
	v_mov_b32_e32 v50, v17
	v_fmac_f32_e32 v17, 0xbf4c4adb, v15
	v_fmac_f32_e32 v49, 0xbf7ee86f, v15
	;; [unrolled: 1-line block ×5, first 2 shown]
	v_add_f32_e32 v15, v17, v19
	v_add_f32_e32 v19, v12, v14
	v_sub_f32_e32 v12, v12, v14
	v_add_f32_e32 v17, v11, v13
	v_sub_f32_e32 v11, v11, v13
	v_mul_f32_e32 v13, 0xbf4c4adb, v12
	v_fma_f32 v14, v17, s21, -v13
	v_fmac_f32_e32 v13, 0xbf1a4643, v17
	v_fma_f32 v16, v21, s21, -v16
	v_add_f32_e32 v13, v13, v18
	v_mul_f32_e32 v18, 0xbf1a4643, v19
	v_add_f32_e32 v16, v16, v20
	v_mov_b32_e32 v20, v18
	v_fmac_f32_e32 v18, 0xbf4c4adb, v11
	v_mul_f32_e32 v21, 0x3f763a35, v12
	v_fmac_f32_e32 v20, 0x3f4c4adb, v11
	v_add_f32_e32 v14, v14, v23
	v_add_f32_e32 v18, v18, v22
	v_fma_f32 v22, v17, s20, -v21
	v_fmac_f32_e32 v21, 0xbe8c1d8e, v17
	v_mul_f32_e32 v23, 0xbe8c1d8e, v19
	v_add_f32_e32 v20, v20, v24
	v_add_f32_e32 v21, v21, v25
	v_mov_b32_e32 v24, v23
	v_fmac_f32_e32 v23, 0x3f763a35, v11
	v_mul_f32_e32 v25, 0xbeb8f4ab, v12
	v_fmac_f32_e32 v24, 0xbf763a35, v11
	v_add_f32_e32 v22, v22, v26
	v_add_f32_e32 v23, v23, v27
	v_fma_f32 v26, v17, s17, -v25
	v_fmac_f32_e32 v25, 0x3f6eb680, v17
	v_mul_f32_e32 v27, 0x3f6eb680, v19
	v_add_f32_e32 v24, v24, v28
	;; [unrolled: 11-line block ×5, first 2 shown]
	v_add_f32_e32 v37, v37, v41
	v_add_f32_e32 v38, v38, v42
	v_mov_b32_e32 v41, v40
	v_fmac_f32_e32 v40, 0xbf2c7751, v11
	v_mul_f32_e32 v42, 0xbe3c28d5, v12
	v_add_f32_e32 v52, v52, v56
	v_add_f32_e32 v39, v39, v43
	;; [unrolled: 1-line block ×3, first 2 shown]
	v_fma_f32 v43, v17, s23, -v42
	v_fmac_f32_e32 v42, 0xbf7ba420, v17
	v_mul_f32_e32 v44, 0xbf7ba420, v19
	v_add_f32_e32 v46, v46, v52
	v_add_f32_e32 v42, v42, v45
	v_mov_b32_e32 v45, v44
	v_fmac_f32_e32 v44, 0xbe3c28d5, v11
	v_mul_f32_e32 v12, 0x3f65296c, v12
	v_add_f32_e32 v44, v44, v46
	v_mov_b32_e32 v46, v12
	v_mul_f32_e32 v19, 0x3ee437d1, v19
	v_fma_f32 v12, v17, s15, -v12
	v_add_f32_e32 v43, v43, v47
	v_mov_b32_e32 v47, v19
	v_add_f32_e32 v12, v12, v16
	v_fmac_f32_e32 v19, 0x3f65296c, v11
	v_add_f32_e32 v16, v8, v10
	v_sub_f32_e32 v8, v8, v10
	v_fmac_f32_e32 v41, 0x3f2c7751, v11
	v_fmac_f32_e32 v45, 0x3e3c28d5, v11
	;; [unrolled: 1-line block ×3, first 2 shown]
	v_add_f32_e32 v11, v19, v15
	v_add_f32_e32 v15, v7, v9
	v_sub_f32_e32 v7, v7, v9
	v_mul_f32_e32 v9, 0xbf06c442, v8
	v_fma_f32 v10, v15, s22, -v9
	v_fmac_f32_e32 v9, 0xbf59a7d5, v15
	v_add_f32_e32 v9, v9, v13
	v_mul_f32_e32 v13, 0xbf59a7d5, v16
	v_fmac_f32_e32 v46, 0x3ee437d1, v17
	v_mov_b32_e32 v17, v13
	v_add_f32_e32 v10, v10, v14
	v_fmac_f32_e32 v13, 0xbf06c442, v7
	v_mul_f32_e32 v14, 0x3f65296c, v8
	v_add_f32_e32 v13, v13, v18
	v_fma_f32 v18, v15, s15, -v14
	v_fmac_f32_e32 v14, 0x3ee437d1, v15
	v_fmac_f32_e32 v17, 0x3f06c442, v7
	v_add_f32_e32 v14, v14, v21
	v_mul_f32_e32 v19, 0x3ee437d1, v16
	v_mul_f32_e32 v21, 0xbf7ee86f, v8
	v_add_f32_e32 v17, v17, v20
	v_mov_b32_e32 v20, v19
	v_add_f32_e32 v18, v18, v22
	v_fmac_f32_e32 v19, 0x3f65296c, v7
	v_fma_f32 v22, v15, s18, -v21
	v_fmac_f32_e32 v21, 0x3dbcf732, v15
	v_fmac_f32_e32 v20, 0xbf65296c, v7
	v_add_f32_e32 v19, v19, v23
	v_add_f32_e32 v21, v21, v25
	v_mul_f32_e32 v23, 0x3dbcf732, v16
	v_mul_f32_e32 v25, 0x3f4c4adb, v8
	v_add_f32_e32 v20, v20, v24
	v_mov_b32_e32 v24, v23
	v_add_f32_e32 v22, v22, v26
	v_fmac_f32_e32 v23, 0xbf7ee86f, v7
	v_fma_f32 v26, v15, s21, -v25
	v_fmac_f32_e32 v25, 0xbf1a4643, v15
	v_fmac_f32_e32 v24, 0x3f7ee86f, v7
	v_add_f32_e32 v23, v23, v27
	;; [unrolled: 11-line block ×4, first 2 shown]
	v_add_f32_e32 v36, v34, v38
	v_mul_f32_e32 v34, 0xbf7ba420, v16
	v_add_f32_e32 v32, v32, v37
	v_mov_b32_e32 v37, v34
	v_fmac_f32_e32 v34, 0xbe3c28d5, v7
	v_add_f32_e32 v53, v53, v57
	v_add_f32_e32 v38, v35, v39
	;; [unrolled: 1-line block ×3, first 2 shown]
	v_mul_f32_e32 v34, 0x3f2c7751, v8
	v_add_f32_e32 v61, v66, v61
	v_add_f32_e32 v49, v49, v53
	v_fma_f32 v35, v15, s16, -v34
	v_fmac_f32_e32 v34, 0x3f3d2fb0, v15
	v_add_f32_e32 v63, v64, v63
	v_add_f32_e32 v59, v59, v61
	;; [unrolled: 1-line block ×3, first 2 shown]
	v_fmac_f32_e32 v37, 0x3e3c28d5, v7
	v_add_f32_e32 v40, v34, v42
	v_mul_f32_e32 v34, 0x3f3d2fb0, v16
	v_add_f32_e32 v58, v58, v63
	v_add_f32_e32 v55, v55, v59
	;; [unrolled: 1-line block ×3, first 2 shown]
	v_mov_b32_e32 v41, v34
	v_fmac_f32_e32 v34, 0x3f2c7751, v7
	v_mul_f32_e32 v8, 0xbf763a35, v8
	v_add_f32_e32 v54, v54, v58
	v_add_f32_e32 v51, v51, v55
	;; [unrolled: 1-line block ×4, first 2 shown]
	v_mov_b32_e32 v34, v8
	v_add_f32_e32 v50, v50, v54
	v_add_f32_e32 v45, v45, v51
	;; [unrolled: 1-line block ×3, first 2 shown]
	v_fmac_f32_e32 v34, 0xbe8c1d8e, v15
	v_mul_f32_e32 v16, 0xbe8c1d8e, v16
	v_sub_f32_e32 v51, v4, v6
	v_add_f32_e32 v47, v47, v50
	v_add_f32_e32 v44, v34, v46
	v_mov_b32_e32 v34, v16
	v_add_f32_e32 v48, v3, v5
	v_add_f32_e32 v49, v4, v6
	v_sub_f32_e32 v50, v3, v5
	v_mul_f32_e32 v3, 0xbe3c28d5, v51
	v_fmac_f32_e32 v41, 0xbf2c7751, v7
	v_fmac_f32_e32 v34, 0x3f763a35, v7
	v_fma_f32 v4, v48, s23, -v3
	v_fmac_f32_e32 v3, 0xbf7ba420, v48
	v_mul_f32_e32 v5, 0xbf7ba420, v49
	v_add_f32_e32 v41, v41, v45
	v_add_f32_e32 v45, v34, v47
	;; [unrolled: 1-line block ×3, first 2 shown]
	v_mov_b32_e32 v3, v5
	v_fmac_f32_e32 v3, 0x3e3c28d5, v50
	v_fmac_f32_e32 v5, 0xbe3c28d5, v50
	v_add_f32_e32 v35, v3, v17
	v_add_f32_e32 v3, v4, v10
	;; [unrolled: 1-line block ×3, first 2 shown]
	v_mul_f32_e32 v5, 0x3eb8f4ab, v51
	v_fmac_f32_e32 v16, 0xbf763a35, v7
	v_fma_f32 v6, v48, s17, -v5
	v_fmac_f32_e32 v5, 0x3f6eb680, v48
	v_mul_f32_e32 v7, 0x3f6eb680, v49
	v_add_f32_e32 v9, v5, v14
	v_mov_b32_e32 v5, v7
	v_fmac_f32_e32 v5, 0xbeb8f4ab, v50
	v_fmac_f32_e32 v7, 0x3eb8f4ab, v50
	v_fma_f32 v8, v15, s20, -v8
	v_add_f32_e32 v10, v5, v20
	v_add_f32_e32 v5, v6, v18
	;; [unrolled: 1-line block ×3, first 2 shown]
	v_mul_f32_e32 v7, 0xbf06c442, v51
	v_add_f32_e32 v46, v8, v12
	v_add_f32_e32 v47, v16, v11
	v_fma_f32 v8, v48, s22, -v7
	v_fmac_f32_e32 v7, 0xbf59a7d5, v48
	v_mul_f32_e32 v11, 0xbf59a7d5, v49
	v_add_f32_e32 v13, v7, v21
	v_mov_b32_e32 v7, v11
	v_fmac_f32_e32 v7, 0x3f06c442, v50
	v_fmac_f32_e32 v11, 0xbf06c442, v50
	v_add_f32_e32 v14, v7, v24
	v_add_f32_e32 v7, v8, v22
	v_add_f32_e32 v8, v11, v23
	v_mul_f32_e32 v11, 0x3f2c7751, v51
	v_fma_f32 v12, v48, s16, -v11
	v_fmac_f32_e32 v11, 0x3f3d2fb0, v48
	v_mul_f32_e32 v15, 0x3f3d2fb0, v49
	v_add_f32_e32 v17, v11, v25
	v_mov_b32_e32 v11, v15
	v_fmac_f32_e32 v11, 0xbf2c7751, v50
	v_fmac_f32_e32 v15, 0x3f2c7751, v50
	v_add_f32_e32 v18, v11, v28
	v_add_f32_e32 v11, v12, v26
	v_add_f32_e32 v12, v15, v27
	v_mul_f32_e32 v15, 0xbf4c4adb, v51
	v_fma_f32 v16, v48, s21, -v15
	v_fmac_f32_e32 v15, 0xbf1a4643, v48
	v_mul_f32_e32 v21, 0xbf1a4643, v49
	v_add_f32_e32 v19, v15, v29
	v_mov_b32_e32 v15, v21
	v_fmac_f32_e32 v15, 0x3f4c4adb, v50
	v_fmac_f32_e32 v21, 0xbf4c4adb, v50
	v_add_f32_e32 v20, v15, v32
	v_add_f32_e32 v15, v16, v30
	v_add_f32_e32 v16, v21, v31
	v_mul_f32_e32 v21, 0x3f65296c, v51
	v_fma_f32 v22, v48, s15, -v21
	v_fmac_f32_e32 v21, 0x3ee437d1, v48
	v_mul_f32_e32 v25, 0x3ee437d1, v49
	v_add_f32_e32 v23, v21, v36
	v_mov_b32_e32 v21, v25
	v_fmac_f32_e32 v21, 0xbf65296c, v50
	v_fmac_f32_e32 v25, 0x3f65296c, v50
	v_add_f32_e32 v24, v21, v37
	v_add_f32_e32 v21, v22, v38
	v_add_f32_e32 v22, v25, v39
	v_mul_f32_e32 v25, 0xbf763a35, v51
	v_fma_f32 v26, v48, s20, -v25
	v_fmac_f32_e32 v25, 0xbe8c1d8e, v48
	v_mul_f32_e32 v29, 0xbe8c1d8e, v49
	v_add_f32_e32 v27, v25, v40
	v_mov_b32_e32 v25, v29
	v_fmac_f32_e32 v25, 0x3f763a35, v50
	v_fmac_f32_e32 v29, 0xbf763a35, v50
	v_mul_f32_e32 v31, 0x3f7ee86f, v51
	v_mul_f32_e32 v32, 0x3dbcf732, v49
	v_add_f32_e32 v28, v25, v41
	v_add_f32_e32 v25, v26, v42
	;; [unrolled: 1-line block ×3, first 2 shown]
	v_mov_b32_e32 v29, v31
	v_mov_b32_e32 v30, v32
	v_fmac_f32_e32 v29, 0x3dbcf732, v48
	v_fmac_f32_e32 v30, 0xbf7ee86f, v50
	v_fma_f32 v31, v48, s18, -v31
	v_fmac_f32_e32 v32, 0x3f7ee86f, v50
	v_add_f32_e32 v29, v29, v44
	v_add_f32_e32 v30, v30, v45
	;; [unrolled: 1-line block ×4, first 2 shown]
	s_barrier
	ds_write2_b64 v33, v[1:2], v[34:35] offset1:17
	ds_write2_b64 v33, v[9:10], v[13:14] offset0:34 offset1:51
	ds_write2_b64 v33, v[17:18], v[19:20] offset0:68 offset1:85
	;; [unrolled: 1-line block ×7, first 2 shown]
	ds_write_b64 v33, v[3:4] offset:2176
	v_mul_hi_u32 v7, v0, s3
	s_waitcnt lgkmcnt(0)
	s_barrier
	v_mul_u32_u24_e32 v1, 7, v7
	v_sub_u32_e32 v8, v0, v1
	s_cbranch_vccnz .LBB0_10
; %bb.7:
	v_mad_u64_u32 v[4:5], s[6:7], s12, v8, 0
	v_mul_lo_u32 v1, v7, s2
	s_mov_b64 s[10:11], 0
	v_mov_b32_e32 v2, v5
	v_mad_u64_u32 v[5:6], s[6:7], s13, v8, v[2:3]
	s_lshl_b64 s[6:7], s[8:9], 3
	v_mul_i32_i24_e32 v3, 0x910, v8
	v_lshlrev_b32_e32 v6, 3, v7
	s_add_u32 s3, s4, s6
	v_lshlrev_b64 v[4:5], 3, v[4:5]
	v_add3_u32 v3, 0, v3, v6
	s_addc_u32 s6, s5, s7
	v_mov_b32_e32 v2, 0
	ds_read2_b64 v[11:14], v3 offset1:17
	v_mov_b32_e32 v6, s6
	v_add_co_u32_e32 v9, vcc, s3, v4
	v_addc_co_u32_e32 v10, vcc, v6, v5, vcc
	v_lshlrev_b64 v[4:5], 3, v[1:2]
	s_mul_i32 s3, s2, 17
	v_add_co_u32_e32 v4, vcc, v9, v4
	v_addc_co_u32_e32 v5, vcc, v10, v5, vcc
	v_add_u32_e32 v1, s3, v1
	s_waitcnt lgkmcnt(0)
	global_store_dwordx2 v[4:5], v[11:12], off
	v_lshlrev_b64 v[4:5], 3, v[1:2]
	v_add_u32_e32 v1, s3, v1
	v_add_co_u32_e32 v4, vcc, v9, v4
	v_addc_co_u32_e32 v5, vcc, v10, v5, vcc
	global_store_dwordx2 v[4:5], v[13:14], off
	ds_read2_b64 v[11:14], v3 offset0:34 offset1:51
	v_lshlrev_b64 v[4:5], 3, v[1:2]
	v_add_u32_e32 v1, s3, v1
	v_add_co_u32_e32 v4, vcc, v9, v4
	v_addc_co_u32_e32 v5, vcc, v10, v5, vcc
	s_waitcnt lgkmcnt(0)
	global_store_dwordx2 v[4:5], v[11:12], off
	v_lshlrev_b64 v[4:5], 3, v[1:2]
	v_add_u32_e32 v1, s3, v1
	v_add_co_u32_e32 v4, vcc, v9, v4
	v_addc_co_u32_e32 v5, vcc, v10, v5, vcc
	global_store_dwordx2 v[4:5], v[13:14], off
	ds_read2_b64 v[11:14], v3 offset0:68 offset1:85
	v_lshlrev_b64 v[4:5], 3, v[1:2]
	v_add_u32_e32 v1, s3, v1
	v_add_co_u32_e32 v4, vcc, v9, v4
	v_addc_co_u32_e32 v5, vcc, v10, v5, vcc
	;; [unrolled: 12-line block ×7, first 2 shown]
	s_waitcnt lgkmcnt(0)
	global_store_dwordx2 v[4:5], v[11:12], off
	v_lshlrev_b64 v[4:5], 3, v[1:2]
	v_add_u32_e32 v1, s3, v1
	v_add_co_u32_e32 v4, vcc, v9, v4
	v_addc_co_u32_e32 v5, vcc, v10, v5, vcc
	global_store_dwordx2 v[4:5], v[13:14], off
	ds_read_b64 v[4:5], v3 offset:2176
	v_lshlrev_b64 v[11:12], 3, v[1:2]
	s_mov_b64 s[6:7], 0
	v_add_co_u32_e32 v11, vcc, v9, v11
	v_addc_co_u32_e32 v12, vcc, v10, v12, vcc
	v_cmp_gt_u32_e32 vcc, 7, v0
	s_waitcnt lgkmcnt(0)
	global_store_dwordx2 v[11:12], v[4:5], off
                                        ; implicit-def: $vgpr4
                                        ; implicit-def: $vgpr5_vgpr6
	s_and_saveexec_b64 s[14:15], vcc
	s_cbranch_execz .LBB0_9
; %bb.8:
	v_add_u32_e32 v1, s3, v1
	ds_read_b64 v[3:4], v3 offset:2312
	v_lshlrev_b64 v[1:2], 3, v[1:2]
	s_mov_b64 s[6:7], exec
	v_add_co_u32_e32 v5, vcc, v9, v1
	v_addc_co_u32_e32 v6, vcc, v10, v2, vcc
	s_waitcnt lgkmcnt(0)
	global_store_dword v[5:6], v3, off
.LBB0_9:
	s_or_b64 exec, exec, s[14:15]
	s_and_b64 vcc, exec, s[10:11]
	s_cbranch_vccnz .LBB0_11
	s_branch .LBB0_16
.LBB0_10:
	s_mov_b64 s[6:7], 0
                                        ; implicit-def: $vgpr4
                                        ; implicit-def: $vgpr5_vgpr6
	s_cbranch_execz .LBB0_16
.LBB0_11:
	v_add_u32_e32 v1, s1, v8
	v_cmp_gt_u32_e32 vcc, s0, v1
                                        ; implicit-def: $vgpr4
                                        ; implicit-def: $vgpr5_vgpr6
	s_and_saveexec_b64 s[10:11], vcc
	s_cbranch_execz .LBB0_15
; %bb.12:
	v_mad_u64_u32 v[4:5], s[14:15], s12, v8, 0
	v_mul_lo_u32 v1, v7, s2
	s_movk_i32 s1, 0x910
	v_mov_b32_e32 v2, v5
	v_mad_u64_u32 v[5:6], s[12:13], s13, v8, v[2:3]
	s_lshl_b64 s[8:9], s[8:9], 3
	v_mad_i32_i24 v3, v8, s1, 0
	s_add_u32 s1, s4, s8
	v_lshlrev_b64 v[4:5], 3, v[4:5]
	v_lshl_add_u32 v6, v7, 3, v3
	s_addc_u32 s3, s5, s9
	v_mov_b32_e32 v2, 0
	ds_read2_b64 v[9:12], v6 offset1:17
	v_mov_b32_e32 v8, s3
	v_add_co_u32_e32 v7, vcc, s1, v4
	v_addc_co_u32_e32 v8, vcc, v8, v5, vcc
	v_lshlrev_b64 v[4:5], 3, v[1:2]
	s_mul_i32 s4, s2, 17
	v_add_co_u32_e32 v4, vcc, v7, v4
	v_addc_co_u32_e32 v5, vcc, v8, v5, vcc
	v_add_u32_e32 v1, s4, v1
	s_waitcnt lgkmcnt(0)
	global_store_dwordx2 v[4:5], v[9:10], off
	v_lshlrev_b64 v[4:5], 3, v[1:2]
	v_add_u32_e32 v1, s4, v1
	v_add_co_u32_e32 v4, vcc, v7, v4
	v_addc_co_u32_e32 v5, vcc, v8, v5, vcc
	global_store_dwordx2 v[4:5], v[11:12], off
	ds_read2_b64 v[9:12], v6 offset0:34 offset1:51
	v_lshlrev_b64 v[4:5], 3, v[1:2]
	v_add_u32_e32 v1, s4, v1
	v_add_co_u32_e32 v4, vcc, v7, v4
	v_addc_co_u32_e32 v5, vcc, v8, v5, vcc
	s_waitcnt lgkmcnt(0)
	global_store_dwordx2 v[4:5], v[9:10], off
	v_lshlrev_b64 v[4:5], 3, v[1:2]
	v_add_u32_e32 v1, s4, v1
	v_add_co_u32_e32 v4, vcc, v7, v4
	v_addc_co_u32_e32 v5, vcc, v8, v5, vcc
	global_store_dwordx2 v[4:5], v[11:12], off
	ds_read2_b64 v[9:12], v6 offset0:68 offset1:85
	v_lshlrev_b64 v[4:5], 3, v[1:2]
	v_add_u32_e32 v1, s4, v1
	v_add_co_u32_e32 v4, vcc, v7, v4
	v_addc_co_u32_e32 v5, vcc, v8, v5, vcc
	;; [unrolled: 12-line block ×7, first 2 shown]
	s_waitcnt lgkmcnt(0)
	global_store_dwordx2 v[4:5], v[9:10], off
	v_lshlrev_b64 v[4:5], 3, v[1:2]
	s_mul_hi_u32 s1, s0, 0x24924925
	v_add_co_u32_e32 v4, vcc, v7, v4
	s_sub_i32 s2, s0, s1
	v_addc_co_u32_e32 v5, vcc, v8, v5, vcc
	v_add_u32_e32 v1, s4, v1
	s_lshr_b32 s2, s2, 1
	global_store_dwordx2 v[4:5], v[11:12], off
	ds_read_b64 v[4:5], v6 offset:2176
	v_lshlrev_b64 v[9:10], 3, v[1:2]
	s_add_i32 s2, s2, s1
	s_lshr_b32 s1, s2, 2
	v_add_co_u32_e32 v9, vcc, v7, v9
	s_mul_i32 s1, s1, 7
	v_addc_co_u32_e32 v10, vcc, v8, v10, vcc
	s_sub_i32 s0, s0, s1
	v_cmp_gt_u32_e32 vcc, s0, v0
	s_mov_b64 s[2:3], s[6:7]
	s_waitcnt lgkmcnt(0)
	global_store_dwordx2 v[9:10], v[4:5], off
                                        ; implicit-def: $vgpr4
                                        ; implicit-def: $vgpr5_vgpr6
	s_and_saveexec_b64 s[0:1], vcc
	s_cbranch_execz .LBB0_14
; %bb.13:
	v_add_u32_e32 v1, s4, v1
	ds_read_b64 v[3:4], v3 offset:2312
	v_lshlrev_b64 v[0:1], 3, v[1:2]
	s_or_b64 s[2:3], s[6:7], exec
	v_add_co_u32_e32 v5, vcc, v7, v0
	v_addc_co_u32_e32 v6, vcc, v8, v1, vcc
	s_waitcnt lgkmcnt(0)
	global_store_dword v[5:6], v3, off
.LBB0_14:
	s_or_b64 exec, exec, s[0:1]
	s_andn2_b64 s[0:1], s[6:7], exec
	s_and_b64 s[2:3], s[2:3], exec
	s_or_b64 s[6:7], s[0:1], s[2:3]
.LBB0_15:
	s_or_b64 exec, exec, s[10:11]
.LBB0_16:
	s_and_saveexec_b64 s[0:1], s[6:7]
	s_cbranch_execnz .LBB0_18
; %bb.17:
	s_endpgm
.LBB0_18:
	global_store_dword v[5:6], v4, off offset:4
	s_endpgm
	.section	.rodata,"a",@progbits
	.p2align	6, 0x0
	.amdhsa_kernel fft_rtc_back_len289_factors_17_17_wgs_119_tpt_17_sp_op_CI_CI_sbrc_erc_z_xy_unaligned
		.amdhsa_group_segment_fixed_size 0
		.amdhsa_private_segment_fixed_size 0
		.amdhsa_kernarg_size 104
		.amdhsa_user_sgpr_count 6
		.amdhsa_user_sgpr_private_segment_buffer 1
		.amdhsa_user_sgpr_dispatch_ptr 0
		.amdhsa_user_sgpr_queue_ptr 0
		.amdhsa_user_sgpr_kernarg_segment_ptr 1
		.amdhsa_user_sgpr_dispatch_id 0
		.amdhsa_user_sgpr_flat_scratch_init 0
		.amdhsa_user_sgpr_private_segment_size 0
		.amdhsa_uses_dynamic_stack 0
		.amdhsa_system_sgpr_private_segment_wavefront_offset 0
		.amdhsa_system_sgpr_workgroup_id_x 1
		.amdhsa_system_sgpr_workgroup_id_y 0
		.amdhsa_system_sgpr_workgroup_id_z 0
		.amdhsa_system_sgpr_workgroup_info 0
		.amdhsa_system_vgpr_workitem_id 0
		.amdhsa_next_free_vgpr 74
		.amdhsa_next_free_sgpr 30
		.amdhsa_reserve_vcc 1
		.amdhsa_reserve_flat_scratch 0
		.amdhsa_float_round_mode_32 0
		.amdhsa_float_round_mode_16_64 0
		.amdhsa_float_denorm_mode_32 3
		.amdhsa_float_denorm_mode_16_64 3
		.amdhsa_dx10_clamp 1
		.amdhsa_ieee_mode 1
		.amdhsa_fp16_overflow 0
		.amdhsa_exception_fp_ieee_invalid_op 0
		.amdhsa_exception_fp_denorm_src 0
		.amdhsa_exception_fp_ieee_div_zero 0
		.amdhsa_exception_fp_ieee_overflow 0
		.amdhsa_exception_fp_ieee_underflow 0
		.amdhsa_exception_fp_ieee_inexact 0
		.amdhsa_exception_int_div_zero 0
	.end_amdhsa_kernel
	.text
.Lfunc_end0:
	.size	fft_rtc_back_len289_factors_17_17_wgs_119_tpt_17_sp_op_CI_CI_sbrc_erc_z_xy_unaligned, .Lfunc_end0-fft_rtc_back_len289_factors_17_17_wgs_119_tpt_17_sp_op_CI_CI_sbrc_erc_z_xy_unaligned
                                        ; -- End function
	.section	.AMDGPU.csdata,"",@progbits
; Kernel info:
; codeLenInByte = 14808
; NumSgprs: 34
; NumVgprs: 74
; ScratchSize: 0
; MemoryBound: 0
; FloatMode: 240
; IeeeMode: 1
; LDSByteSize: 0 bytes/workgroup (compile time only)
; SGPRBlocks: 4
; VGPRBlocks: 18
; NumSGPRsForWavesPerEU: 34
; NumVGPRsForWavesPerEU: 74
; Occupancy: 3
; WaveLimiterHint : 1
; COMPUTE_PGM_RSRC2:SCRATCH_EN: 0
; COMPUTE_PGM_RSRC2:USER_SGPR: 6
; COMPUTE_PGM_RSRC2:TRAP_HANDLER: 0
; COMPUTE_PGM_RSRC2:TGID_X_EN: 1
; COMPUTE_PGM_RSRC2:TGID_Y_EN: 0
; COMPUTE_PGM_RSRC2:TGID_Z_EN: 0
; COMPUTE_PGM_RSRC2:TIDIG_COMP_CNT: 0
	.type	__hip_cuid_6f3b1aeaf92c1c0b,@object ; @__hip_cuid_6f3b1aeaf92c1c0b
	.section	.bss,"aw",@nobits
	.globl	__hip_cuid_6f3b1aeaf92c1c0b
__hip_cuid_6f3b1aeaf92c1c0b:
	.byte	0                               ; 0x0
	.size	__hip_cuid_6f3b1aeaf92c1c0b, 1

	.ident	"AMD clang version 19.0.0git (https://github.com/RadeonOpenCompute/llvm-project roc-6.4.0 25133 c7fe45cf4b819c5991fe208aaa96edf142730f1d)"
	.section	".note.GNU-stack","",@progbits
	.addrsig
	.addrsig_sym __hip_cuid_6f3b1aeaf92c1c0b
	.amdgpu_metadata
---
amdhsa.kernels:
  - .args:
      - .actual_access:  read_only
        .address_space:  global
        .offset:         0
        .size:           8
        .value_kind:     global_buffer
      - .offset:         8
        .size:           8
        .value_kind:     by_value
      - .actual_access:  read_only
        .address_space:  global
        .offset:         16
        .size:           8
        .value_kind:     global_buffer
      - .actual_access:  read_only
        .address_space:  global
        .offset:         24
        .size:           8
        .value_kind:     global_buffer
      - .actual_access:  read_only
        .address_space:  global
        .offset:         32
        .size:           8
        .value_kind:     global_buffer
      - .offset:         40
        .size:           8
        .value_kind:     by_value
      - .actual_access:  read_only
        .address_space:  global
        .offset:         48
        .size:           8
        .value_kind:     global_buffer
      - .actual_access:  read_only
        .address_space:  global
        .offset:         56
        .size:           8
        .value_kind:     global_buffer
      - .offset:         64
        .size:           4
        .value_kind:     by_value
      - .actual_access:  read_only
        .address_space:  global
        .offset:         72
        .size:           8
        .value_kind:     global_buffer
      - .actual_access:  read_only
        .address_space:  global
        .offset:         80
        .size:           8
        .value_kind:     global_buffer
      - .actual_access:  read_only
        .address_space:  global
        .offset:         88
        .size:           8
        .value_kind:     global_buffer
      - .actual_access:  write_only
        .address_space:  global
        .offset:         96
        .size:           8
        .value_kind:     global_buffer
    .group_segment_fixed_size: 0
    .kernarg_segment_align: 8
    .kernarg_segment_size: 104
    .language:       OpenCL C
    .language_version:
      - 2
      - 0
    .max_flat_workgroup_size: 119
    .name:           fft_rtc_back_len289_factors_17_17_wgs_119_tpt_17_sp_op_CI_CI_sbrc_erc_z_xy_unaligned
    .private_segment_fixed_size: 0
    .sgpr_count:     34
    .sgpr_spill_count: 0
    .symbol:         fft_rtc_back_len289_factors_17_17_wgs_119_tpt_17_sp_op_CI_CI_sbrc_erc_z_xy_unaligned.kd
    .uniform_work_group_size: 1
    .uses_dynamic_stack: false
    .vgpr_count:     74
    .vgpr_spill_count: 0
    .wavefront_size: 64
amdhsa.target:   amdgcn-amd-amdhsa--gfx906
amdhsa.version:
  - 1
  - 2
...

	.end_amdgpu_metadata
